;; amdgpu-corpus repo=ROCm/rocFFT kind=compiled arch=gfx1201 opt=O3
	.text
	.amdgcn_target "amdgcn-amd-amdhsa--gfx1201"
	.amdhsa_code_object_version 6
	.protected	fft_rtc_back_len714_factors_3_17_7_2_wgs_51_tpt_51_halfLds_sp_op_CI_CI_sbrr_dirReg ; -- Begin function fft_rtc_back_len714_factors_3_17_7_2_wgs_51_tpt_51_halfLds_sp_op_CI_CI_sbrr_dirReg
	.globl	fft_rtc_back_len714_factors_3_17_7_2_wgs_51_tpt_51_halfLds_sp_op_CI_CI_sbrr_dirReg
	.p2align	8
	.type	fft_rtc_back_len714_factors_3_17_7_2_wgs_51_tpt_51_halfLds_sp_op_CI_CI_sbrr_dirReg,@function
fft_rtc_back_len714_factors_3_17_7_2_wgs_51_tpt_51_halfLds_sp_op_CI_CI_sbrr_dirReg: ; @fft_rtc_back_len714_factors_3_17_7_2_wgs_51_tpt_51_halfLds_sp_op_CI_CI_sbrr_dirReg
; %bb.0:
	s_clause 0x2
	s_load_b128 s[12:15], s[0:1], 0x18
	s_load_b128 s[8:11], s[0:1], 0x0
	;; [unrolled: 1-line block ×3, first 2 shown]
	v_mul_u32_u24_e32 v1, 0x506, v0
	v_dual_mov_b32 v3, 0 :: v_dual_mov_b32 v14, 0
	v_mov_b32_e32 v15, 0
	s_wait_kmcnt 0x0
	s_load_b64 s[18:19], s[12:13], 0x0
	s_load_b64 s[16:17], s[14:15], 0x0
	v_lshrrev_b32_e32 v1, 16, v1
	v_cmp_lt_u64_e64 s2, s[10:11], 2
	s_delay_alu instid0(VALU_DEP_2) | instskip(NEXT) | instid1(VALU_DEP_2)
	v_dual_mov_b32 v8, v3 :: v_dual_add_nc_u32 v7, ttmp9, v1
	s_and_b32 vcc_lo, exec_lo, s2
	s_cbranch_vccnz .LBB0_8
; %bb.1:
	s_load_b64 s[2:3], s[0:1], 0x10
	v_mov_b32_e32 v14, 0
	v_mov_b32_e32 v15, 0
	s_delay_alu instid0(VALU_DEP_2)
	v_mov_b32_e32 v1, v14
	s_add_nc_u64 s[20:21], s[14:15], 8
	s_add_nc_u64 s[22:23], s[12:13], 8
	s_mov_b64 s[24:25], 1
	v_mov_b32_e32 v2, v15
	s_wait_kmcnt 0x0
	s_add_nc_u64 s[26:27], s[2:3], 8
	s_mov_b32 s3, 0
.LBB0_2:                                ; =>This Inner Loop Header: Depth=1
	s_load_b64 s[28:29], s[26:27], 0x0
                                        ; implicit-def: $vgpr5_vgpr6
	s_mov_b32 s2, exec_lo
	s_wait_kmcnt 0x0
	v_or_b32_e32 v4, s29, v8
	s_delay_alu instid0(VALU_DEP_1)
	v_cmpx_ne_u64_e32 0, v[3:4]
	s_wait_alu 0xfffe
	s_xor_b32 s30, exec_lo, s2
	s_cbranch_execz .LBB0_4
; %bb.3:                                ;   in Loop: Header=BB0_2 Depth=1
	s_cvt_f32_u32 s2, s28
	s_cvt_f32_u32 s31, s29
	s_sub_nc_u64 s[36:37], 0, s[28:29]
	s_wait_alu 0xfffe
	s_delay_alu instid0(SALU_CYCLE_1) | instskip(SKIP_1) | instid1(SALU_CYCLE_2)
	s_fmamk_f32 s2, s31, 0x4f800000, s2
	s_wait_alu 0xfffe
	v_s_rcp_f32 s2, s2
	s_delay_alu instid0(TRANS32_DEP_1) | instskip(SKIP_1) | instid1(SALU_CYCLE_2)
	s_mul_f32 s2, s2, 0x5f7ffffc
	s_wait_alu 0xfffe
	s_mul_f32 s31, s2, 0x2f800000
	s_wait_alu 0xfffe
	s_delay_alu instid0(SALU_CYCLE_2) | instskip(SKIP_1) | instid1(SALU_CYCLE_2)
	s_trunc_f32 s31, s31
	s_wait_alu 0xfffe
	s_fmamk_f32 s2, s31, 0xcf800000, s2
	s_cvt_u32_f32 s35, s31
	s_wait_alu 0xfffe
	s_delay_alu instid0(SALU_CYCLE_1) | instskip(SKIP_1) | instid1(SALU_CYCLE_2)
	s_cvt_u32_f32 s34, s2
	s_wait_alu 0xfffe
	s_mul_u64 s[38:39], s[36:37], s[34:35]
	s_wait_alu 0xfffe
	s_mul_hi_u32 s41, s34, s39
	s_mul_i32 s40, s34, s39
	s_mul_hi_u32 s2, s34, s38
	s_mul_i32 s33, s35, s38
	s_wait_alu 0xfffe
	s_add_nc_u64 s[40:41], s[2:3], s[40:41]
	s_mul_hi_u32 s31, s35, s38
	s_mul_hi_u32 s42, s35, s39
	s_add_co_u32 s2, s40, s33
	s_wait_alu 0xfffe
	s_add_co_ci_u32 s2, s41, s31
	s_mul_i32 s38, s35, s39
	s_add_co_ci_u32 s39, s42, 0
	s_wait_alu 0xfffe
	s_add_nc_u64 s[38:39], s[2:3], s[38:39]
	s_wait_alu 0xfffe
	v_add_co_u32 v4, s2, s34, s38
	s_delay_alu instid0(VALU_DEP_1) | instskip(SKIP_1) | instid1(VALU_DEP_1)
	s_cmp_lg_u32 s2, 0
	s_add_co_ci_u32 s35, s35, s39
	v_readfirstlane_b32 s34, v4
	s_wait_alu 0xfffe
	s_delay_alu instid0(VALU_DEP_1)
	s_mul_u64 s[36:37], s[36:37], s[34:35]
	s_wait_alu 0xfffe
	s_mul_hi_u32 s39, s34, s37
	s_mul_i32 s38, s34, s37
	s_mul_hi_u32 s2, s34, s36
	s_mul_i32 s33, s35, s36
	s_wait_alu 0xfffe
	s_add_nc_u64 s[38:39], s[2:3], s[38:39]
	s_mul_hi_u32 s31, s35, s36
	s_mul_hi_u32 s34, s35, s37
	s_wait_alu 0xfffe
	s_add_co_u32 s2, s38, s33
	s_add_co_ci_u32 s2, s39, s31
	s_mul_i32 s36, s35, s37
	s_add_co_ci_u32 s37, s34, 0
	s_wait_alu 0xfffe
	s_add_nc_u64 s[36:37], s[2:3], s[36:37]
	s_wait_alu 0xfffe
	v_add_co_u32 v6, s2, v4, s36
	s_delay_alu instid0(VALU_DEP_1) | instskip(SKIP_1) | instid1(VALU_DEP_1)
	s_cmp_lg_u32 s2, 0
	s_add_co_ci_u32 s2, s35, s37
	v_mul_hi_u32 v13, v7, v6
	s_wait_alu 0xfffe
	v_mad_co_u64_u32 v[4:5], null, v7, s2, 0
	v_mad_co_u64_u32 v[9:10], null, v8, v6, 0
	;; [unrolled: 1-line block ×3, first 2 shown]
	s_delay_alu instid0(VALU_DEP_3) | instskip(SKIP_1) | instid1(VALU_DEP_4)
	v_add_co_u32 v4, vcc_lo, v13, v4
	s_wait_alu 0xfffd
	v_add_co_ci_u32_e32 v5, vcc_lo, 0, v5, vcc_lo
	s_delay_alu instid0(VALU_DEP_2) | instskip(SKIP_1) | instid1(VALU_DEP_2)
	v_add_co_u32 v4, vcc_lo, v4, v9
	s_wait_alu 0xfffd
	v_add_co_ci_u32_e32 v4, vcc_lo, v5, v10, vcc_lo
	s_wait_alu 0xfffd
	v_add_co_ci_u32_e32 v5, vcc_lo, 0, v12, vcc_lo
	s_delay_alu instid0(VALU_DEP_2) | instskip(SKIP_1) | instid1(VALU_DEP_2)
	v_add_co_u32 v9, vcc_lo, v4, v11
	s_wait_alu 0xfffd
	v_add_co_ci_u32_e32 v6, vcc_lo, 0, v5, vcc_lo
	s_delay_alu instid0(VALU_DEP_2) | instskip(SKIP_1) | instid1(VALU_DEP_3)
	v_mul_lo_u32 v10, s29, v9
	v_mad_co_u64_u32 v[4:5], null, s28, v9, 0
	v_mul_lo_u32 v11, s28, v6
	s_delay_alu instid0(VALU_DEP_2) | instskip(NEXT) | instid1(VALU_DEP_2)
	v_sub_co_u32 v4, vcc_lo, v7, v4
	v_add3_u32 v5, v5, v11, v10
	s_delay_alu instid0(VALU_DEP_1) | instskip(SKIP_1) | instid1(VALU_DEP_1)
	v_sub_nc_u32_e32 v10, v8, v5
	s_wait_alu 0xfffd
	v_subrev_co_ci_u32_e64 v10, s2, s29, v10, vcc_lo
	v_add_co_u32 v11, s2, v9, 2
	s_wait_alu 0xf1ff
	v_add_co_ci_u32_e64 v12, s2, 0, v6, s2
	v_sub_co_u32 v13, s2, v4, s28
	v_sub_co_ci_u32_e32 v5, vcc_lo, v8, v5, vcc_lo
	s_wait_alu 0xf1ff
	v_subrev_co_ci_u32_e64 v10, s2, 0, v10, s2
	s_delay_alu instid0(VALU_DEP_3) | instskip(NEXT) | instid1(VALU_DEP_3)
	v_cmp_le_u32_e32 vcc_lo, s28, v13
	v_cmp_eq_u32_e64 s2, s29, v5
	s_wait_alu 0xfffd
	v_cndmask_b32_e64 v13, 0, -1, vcc_lo
	v_cmp_le_u32_e32 vcc_lo, s29, v10
	s_wait_alu 0xfffd
	v_cndmask_b32_e64 v16, 0, -1, vcc_lo
	v_cmp_le_u32_e32 vcc_lo, s28, v4
	;; [unrolled: 3-line block ×3, first 2 shown]
	s_wait_alu 0xfffd
	v_cndmask_b32_e64 v17, 0, -1, vcc_lo
	v_cmp_eq_u32_e32 vcc_lo, s29, v10
	s_wait_alu 0xf1ff
	s_delay_alu instid0(VALU_DEP_2)
	v_cndmask_b32_e64 v4, v17, v4, s2
	s_wait_alu 0xfffd
	v_cndmask_b32_e32 v10, v16, v13, vcc_lo
	v_add_co_u32 v13, vcc_lo, v9, 1
	s_wait_alu 0xfffd
	v_add_co_ci_u32_e32 v16, vcc_lo, 0, v6, vcc_lo
	s_delay_alu instid0(VALU_DEP_3) | instskip(SKIP_1) | instid1(VALU_DEP_2)
	v_cmp_ne_u32_e32 vcc_lo, 0, v10
	s_wait_alu 0xfffd
	v_dual_cndmask_b32 v5, v16, v12 :: v_dual_cndmask_b32 v10, v13, v11
	v_cmp_ne_u32_e32 vcc_lo, 0, v4
	s_wait_alu 0xfffd
	s_delay_alu instid0(VALU_DEP_2)
	v_dual_cndmask_b32 v6, v6, v5 :: v_dual_cndmask_b32 v5, v9, v10
.LBB0_4:                                ;   in Loop: Header=BB0_2 Depth=1
	s_wait_alu 0xfffe
	s_and_not1_saveexec_b32 s2, s30
	s_cbranch_execz .LBB0_6
; %bb.5:                                ;   in Loop: Header=BB0_2 Depth=1
	v_cvt_f32_u32_e32 v4, s28
	s_sub_co_i32 s30, 0, s28
	s_delay_alu instid0(VALU_DEP_1) | instskip(NEXT) | instid1(TRANS32_DEP_1)
	v_rcp_iflag_f32_e32 v4, v4
	v_mul_f32_e32 v4, 0x4f7ffffe, v4
	s_delay_alu instid0(VALU_DEP_1) | instskip(SKIP_1) | instid1(VALU_DEP_1)
	v_cvt_u32_f32_e32 v4, v4
	s_wait_alu 0xfffe
	v_mul_lo_u32 v5, s30, v4
	s_delay_alu instid0(VALU_DEP_1) | instskip(NEXT) | instid1(VALU_DEP_1)
	v_mul_hi_u32 v5, v4, v5
	v_add_nc_u32_e32 v4, v4, v5
	s_delay_alu instid0(VALU_DEP_1) | instskip(NEXT) | instid1(VALU_DEP_1)
	v_mul_hi_u32 v4, v7, v4
	v_mul_lo_u32 v5, v4, s28
	v_add_nc_u32_e32 v6, 1, v4
	s_delay_alu instid0(VALU_DEP_2) | instskip(NEXT) | instid1(VALU_DEP_1)
	v_sub_nc_u32_e32 v5, v7, v5
	v_subrev_nc_u32_e32 v9, s28, v5
	v_cmp_le_u32_e32 vcc_lo, s28, v5
	s_wait_alu 0xfffd
	s_delay_alu instid0(VALU_DEP_2) | instskip(NEXT) | instid1(VALU_DEP_1)
	v_dual_cndmask_b32 v5, v5, v9 :: v_dual_cndmask_b32 v4, v4, v6
	v_cmp_le_u32_e32 vcc_lo, s28, v5
	s_delay_alu instid0(VALU_DEP_2) | instskip(SKIP_1) | instid1(VALU_DEP_1)
	v_add_nc_u32_e32 v6, 1, v4
	s_wait_alu 0xfffd
	v_dual_cndmask_b32 v5, v4, v6 :: v_dual_mov_b32 v6, v3
.LBB0_6:                                ;   in Loop: Header=BB0_2 Depth=1
	s_wait_alu 0xfffe
	s_or_b32 exec_lo, exec_lo, s2
	s_delay_alu instid0(VALU_DEP_1) | instskip(NEXT) | instid1(VALU_DEP_2)
	v_mul_lo_u32 v4, v6, s28
	v_mul_lo_u32 v11, v5, s29
	s_load_b64 s[30:31], s[22:23], 0x0
	v_mad_co_u64_u32 v[9:10], null, v5, s28, 0
	s_load_b64 s[28:29], s[20:21], 0x0
	s_add_nc_u64 s[24:25], s[24:25], 1
	s_add_nc_u64 s[20:21], s[20:21], 8
	s_wait_alu 0xfffe
	v_cmp_ge_u64_e64 s2, s[24:25], s[10:11]
	s_add_nc_u64 s[22:23], s[22:23], 8
	s_add_nc_u64 s[26:27], s[26:27], 8
	v_add3_u32 v4, v10, v11, v4
	v_sub_co_u32 v7, vcc_lo, v7, v9
	s_wait_alu 0xfffd
	s_delay_alu instid0(VALU_DEP_2) | instskip(SKIP_2) | instid1(VALU_DEP_1)
	v_sub_co_ci_u32_e32 v4, vcc_lo, v8, v4, vcc_lo
	s_and_b32 vcc_lo, exec_lo, s2
	s_wait_kmcnt 0x0
	v_mul_lo_u32 v8, s30, v4
	v_mul_lo_u32 v9, s31, v7
	v_mad_co_u64_u32 v[14:15], null, s30, v7, v[14:15]
	v_mul_lo_u32 v4, s28, v4
	v_mul_lo_u32 v10, s29, v7
	v_mad_co_u64_u32 v[1:2], null, s28, v7, v[1:2]
	s_delay_alu instid0(VALU_DEP_4) | instskip(NEXT) | instid1(VALU_DEP_2)
	v_add3_u32 v15, v9, v15, v8
	v_add3_u32 v2, v10, v2, v4
	s_wait_alu 0xfffe
	s_cbranch_vccnz .LBB0_9
; %bb.7:                                ;   in Loop: Header=BB0_2 Depth=1
	v_dual_mov_b32 v8, v6 :: v_dual_mov_b32 v7, v5
	s_branch .LBB0_2
.LBB0_8:
	v_dual_mov_b32 v1, v14 :: v_dual_mov_b32 v2, v15
	s_delay_alu instid0(VALU_DEP_2)
	v_dual_mov_b32 v5, v7 :: v_dual_mov_b32 v6, v8
.LBB0_9:
	s_load_b64 s[0:1], s[0:1], 0x28
	v_mul_hi_u32 v4, 0x5050506, v0
	s_lshl_b64 s[10:11], s[10:11], 3
                                        ; implicit-def: $vgpr3
                                        ; implicit-def: $vgpr7
                                        ; implicit-def: $vgpr9
                                        ; implicit-def: $vgpr11
	s_wait_alu 0xfffe
	s_add_nc_u64 s[2:3], s[14:15], s[10:11]
	s_wait_kmcnt 0x0
	v_cmp_gt_u64_e32 vcc_lo, s[0:1], v[5:6]
	v_cmp_le_u64_e64 s0, s[0:1], v[5:6]
	s_delay_alu instid0(VALU_DEP_1)
	s_and_saveexec_b32 s1, s0
	s_wait_alu 0xfffe
	s_xor_b32 s0, exec_lo, s1
; %bb.10:
	v_mul_u32_u24_e32 v3, 51, v4
                                        ; implicit-def: $vgpr4
                                        ; implicit-def: $vgpr14_vgpr15
	s_delay_alu instid0(VALU_DEP_1) | instskip(NEXT) | instid1(VALU_DEP_1)
	v_sub_nc_u32_e32 v3, v0, v3
                                        ; implicit-def: $vgpr0
	v_add_nc_u32_e32 v7, 51, v3
	v_add_nc_u32_e32 v9, 0x66, v3
	;; [unrolled: 1-line block ×3, first 2 shown]
; %bb.11:
	s_wait_alu 0xfffe
	s_or_saveexec_b32 s1, s0
	s_load_b64 s[2:3], s[2:3], 0x0
                                        ; implicit-def: $vgpr19
                                        ; implicit-def: $vgpr27
                                        ; implicit-def: $vgpr13
                                        ; implicit-def: $vgpr17
                                        ; implicit-def: $vgpr45
                                        ; implicit-def: $vgpr49
                                        ; implicit-def: $vgpr21
                                        ; implicit-def: $vgpr51
                                        ; implicit-def: $vgpr47
                                        ; implicit-def: $vgpr23
                                        ; implicit-def: $vgpr43
                                        ; implicit-def: $vgpr41
                                        ; implicit-def: $vgpr25
                                        ; implicit-def: $vgpr57
                                        ; implicit-def: $vgpr55
	s_xor_b32 exec_lo, exec_lo, s1
	s_cbranch_execz .LBB0_15
; %bb.12:
	s_add_nc_u64 s[10:11], s[12:13], s[10:11]
	v_mul_u32_u24_e32 v3, 51, v4
	s_load_b64 s[10:11], s[10:11], 0x0
	v_lshlrev_b64_e32 v[14:15], 3, v[14:15]
                                        ; implicit-def: $vgpr54
                                        ; implicit-def: $vgpr56
	s_delay_alu instid0(VALU_DEP_2) | instskip(NEXT) | instid1(VALU_DEP_1)
	v_sub_nc_u32_e32 v3, v0, v3
	v_add_nc_u32_e32 v7, 51, v3
	v_mad_co_u64_u32 v[8:9], null, s18, v3, 0
	v_add_nc_u32_e32 v23, 0x1dc, v3
	v_add_nc_u32_e32 v30, 0x154, v3
	s_delay_alu instid0(VALU_DEP_4) | instskip(SKIP_3) | instid1(VALU_DEP_3)
	v_mad_co_u64_u32 v[16:17], null, s18, v7, 0
	v_add_nc_u32_e32 v22, 0xee, v3
	v_mov_b32_e32 v0, v9
	v_mad_co_u64_u32 v[12:13], null, s18, v23, 0
	v_mad_co_u64_u32 v[10:11], null, s18, v22, 0
	s_wait_kmcnt 0x0
	v_mul_lo_u32 v9, s11, v5
	v_mul_lo_u32 v24, s10, v6
	v_mad_co_u64_u32 v[18:19], null, s10, v5, 0
	v_mad_co_u64_u32 v[20:21], null, s19, v3, v[0:1]
	v_dual_mov_b32 v0, v11 :: v_dual_mov_b32 v11, v17
	v_dual_mov_b32 v4, v13 :: v_dual_add_nc_u32 v25, 0x121, v3
	s_delay_alu instid0(VALU_DEP_4) | instskip(NEXT) | instid1(VALU_DEP_3)
	v_add3_u32 v19, v19, v24, v9
	v_mad_co_u64_u32 v[21:22], null, s19, v22, v[0:1]
	v_mov_b32_e32 v9, v20
	s_delay_alu instid0(VALU_DEP_4) | instskip(NEXT) | instid1(VALU_DEP_4)
	v_mad_co_u64_u32 v[22:23], null, s19, v23, v[4:5]
	v_lshlrev_b64_e32 v[17:18], 3, v[18:19]
	v_mad_co_u64_u32 v[19:20], null, s19, v7, v[11:12]
	s_delay_alu instid0(VALU_DEP_4) | instskip(NEXT) | instid1(VALU_DEP_3)
	v_lshlrev_b64_e32 v[8:9], 3, v[8:9]
	v_add_co_u32 v0, s0, s4, v17
	v_mov_b32_e32 v13, v22
	s_delay_alu instid0(VALU_DEP_4) | instskip(SKIP_4) | instid1(VALU_DEP_3)
	v_mov_b32_e32 v17, v19
	v_add_nc_u32_e32 v19, 0x20f, v3
	s_wait_alu 0xf1ff
	v_add_co_ci_u32_e64 v4, s0, s5, v18, s0
	v_add_co_u32 v0, s0, v0, v14
	v_mad_co_u64_u32 v[22:23], null, s18, v19, 0
	v_mov_b32_e32 v11, v21
	s_wait_alu 0xf1ff
	v_add_co_ci_u32_e64 v4, s0, v4, v15, s0
	v_add_co_u32 v14, s0, v0, v8
	v_mad_co_u64_u32 v[20:21], null, s18, v25, 0
	v_mov_b32_e32 v18, v23
	v_lshlrev_b64_e32 v[10:11], 3, v[10:11]
	s_wait_alu 0xf1ff
	v_add_co_ci_u32_e64 v15, s0, v4, v9, s0
	v_lshlrev_b64_e32 v[8:9], 3, v[12:13]
	v_lshlrev_b64_e32 v[16:17], 3, v[16:17]
	v_mad_co_u64_u32 v[28:29], null, s19, v19, v[18:19]
	v_add_co_u32 v10, s0, v0, v10
	s_wait_alu 0xf1ff
	v_add_co_ci_u32_e64 v11, s0, v4, v11, s0
	v_add_co_u32 v12, s0, v0, v8
	v_mov_b32_e32 v8, v21
	s_wait_alu 0xf1ff
	v_add_co_ci_u32_e64 v13, s0, v4, v9, s0
	v_add_co_u32 v16, s0, v0, v16
	s_delay_alu instid0(VALU_DEP_3)
	v_mad_co_u64_u32 v[8:9], null, s19, v25, v[8:9]
	v_add_nc_u32_e32 v9, 0x66, v3
	s_wait_alu 0xf1ff
	v_add_co_ci_u32_e64 v17, s0, v4, v17, s0
	s_clause 0x3
	global_load_b64 v[18:19], v[14:15], off
	global_load_b64 v[26:27], v[10:11], off
	;; [unrolled: 1-line block ×4, first 2 shown]
	v_mov_b32_e32 v23, v28
	v_mad_co_u64_u32 v[24:25], null, s18, v9, 0
	v_mov_b32_e32 v21, v8
	s_mov_b32 s4, exec_lo
	s_delay_alu instid0(VALU_DEP_1) | instskip(SKIP_1) | instid1(VALU_DEP_4)
	v_lshlrev_b64_e32 v[10:11], 3, v[20:21]
	v_mad_co_u64_u32 v[20:21], null, s18, v30, 0
	v_mov_b32_e32 v8, v25
	s_delay_alu instid0(VALU_DEP_3) | instskip(SKIP_1) | instid1(VALU_DEP_3)
	v_add_co_u32 v28, s0, v0, v10
	v_add_nc_u32_e32 v10, 0x242, v3
	v_mad_co_u64_u32 v[14:15], null, s19, v9, v[8:9]
	v_mov_b32_e32 v8, v21
	s_wait_alu 0xf1ff
	v_add_co_ci_u32_e64 v29, s0, v4, v11, s0
	v_add_nc_u32_e32 v11, 0x99, v3
	s_delay_alu instid0(VALU_DEP_3) | instskip(NEXT) | instid1(VALU_DEP_2)
	v_mad_co_u64_u32 v[30:31], null, s19, v30, v[8:9]
	v_mad_co_u64_u32 v[31:32], null, s18, v11, 0
	v_mov_b32_e32 v25, v14
	v_mad_co_u64_u32 v[14:15], null, s18, v10, 0
	s_delay_alu instid0(VALU_DEP_4) | instskip(SKIP_1) | instid1(VALU_DEP_3)
	v_dual_mov_b32 v21, v30 :: v_dual_add_nc_u32 v30, 0x187, v3
	v_lshlrev_b64_e32 v[22:23], 3, v[22:23]
	v_mov_b32_e32 v8, v15
	s_delay_alu instid0(VALU_DEP_2) | instskip(SKIP_1) | instid1(VALU_DEP_3)
	v_add_co_u32 v22, s0, v0, v22
	s_wait_alu 0xf1ff
	v_add_co_ci_u32_e64 v23, s0, v4, v23, s0
	s_delay_alu instid0(VALU_DEP_3)
	v_mad_co_u64_u32 v[33:34], null, s19, v10, v[8:9]
	v_add_nc_u32_e32 v10, 0x275, v3
	v_mov_b32_e32 v8, v32
	v_mad_co_u64_u32 v[34:35], null, s18, v30, 0
	v_lshlrev_b64_e32 v[24:25], 3, v[24:25]
	v_lshlrev_b64_e32 v[20:21], 3, v[20:21]
	s_delay_alu instid0(VALU_DEP_4) | instskip(SKIP_3) | instid1(VALU_DEP_4)
	v_mad_co_u64_u32 v[36:37], null, s19, v11, v[8:9]
	v_mad_co_u64_u32 v[37:38], null, s18, v10, 0
	v_mov_b32_e32 v8, v35
	v_add_co_u32 v24, s0, v0, v24
	v_dual_mov_b32 v15, v33 :: v_dual_mov_b32 v32, v36
	s_delay_alu instid0(VALU_DEP_3)
	v_mad_co_u64_u32 v[35:36], null, s19, v30, v[8:9]
	v_mov_b32_e32 v8, v38
	s_wait_alu 0xf1ff
	v_add_co_ci_u32_e64 v25, s0, v4, v25, s0
	v_add_co_u32 v39, s0, v0, v20
	s_wait_alu 0xf1ff
	v_add_co_ci_u32_e64 v40, s0, v4, v21, s0
	v_mad_co_u64_u32 v[20:21], null, s19, v10, v[8:9]
	v_lshlrev_b64_e32 v[14:15], 3, v[14:15]
	v_lshlrev_b64_e32 v[30:31], 3, v[31:32]
	;; [unrolled: 1-line block ×3, first 2 shown]
	s_delay_alu instid0(VALU_DEP_4) | instskip(NEXT) | instid1(VALU_DEP_4)
	v_mov_b32_e32 v38, v20
	v_add_co_u32 v14, s0, v0, v14
	s_wait_alu 0xf1ff
	v_add_co_ci_u32_e64 v15, s0, v4, v15, s0
	v_add_co_u32 v30, s0, v0, v30
	v_lshlrev_b64_e32 v[20:21], 3, v[37:38]
	s_wait_alu 0xf1ff
	v_add_co_ci_u32_e64 v31, s0, v4, v31, s0
	v_add_co_u32 v32, s0, v0, v32
	s_wait_alu 0xf1ff
	v_add_co_ci_u32_e64 v33, s0, v4, v33, s0
	v_add_co_u32 v34, s0, v0, v20
	s_wait_alu 0xf1ff
	v_add_co_ci_u32_e64 v35, s0, v4, v21, s0
	s_clause 0x7
	global_load_b64 v[44:45], v[28:29], off
	global_load_b64 v[48:49], v[22:23], off
	;; [unrolled: 1-line block ×8, first 2 shown]
                                        ; implicit-def: $vgpr24
	v_cmpx_gt_u32_e32 34, v3
	s_cbranch_execz .LBB0_14
; %bb.13:
	v_add_nc_u32_e32 v32, 0x2a8, v3
	s_delay_alu instid0(VALU_DEP_1) | instskip(SKIP_1) | instid1(VALU_DEP_1)
	v_mad_co_u64_u32 v[28:29], null, s18, v32, 0
	v_add_nc_u32_e32 v30, 0xcc, v3
	v_mad_co_u64_u32 v[14:15], null, s18, v30, 0
	s_delay_alu instid0(VALU_DEP_1) | instskip(NEXT) | instid1(VALU_DEP_1)
	v_dual_mov_b32 v8, v15 :: v_dual_add_nc_u32 v31, 0x1ba, v3
	v_mad_co_u64_u32 v[24:25], null, s18, v31, 0
	v_mov_b32_e32 v15, v29
	s_delay_alu instid0(VALU_DEP_3) | instskip(NEXT) | instid1(VALU_DEP_3)
	v_mad_co_u64_u32 v[29:30], null, s19, v30, v[8:9]
	v_mov_b32_e32 v10, v25
	s_delay_alu instid0(VALU_DEP_1) | instskip(SKIP_2) | instid1(VALU_DEP_4)
	v_mad_co_u64_u32 v[30:31], null, s19, v31, v[10:11]
	s_wait_loadcnt 0x8
	v_mad_co_u64_u32 v[31:32], null, s19, v32, v[15:16]
	v_mov_b32_e32 v15, v29
	s_delay_alu instid0(VALU_DEP_3) | instskip(NEXT) | instid1(VALU_DEP_2)
	v_mov_b32_e32 v25, v30
	v_lshlrev_b64_e32 v[14:15], 3, v[14:15]
	s_delay_alu instid0(VALU_DEP_4) | instskip(NEXT) | instid1(VALU_DEP_3)
	v_mov_b32_e32 v29, v31
	v_lshlrev_b64_e32 v[24:25], 3, v[24:25]
	s_delay_alu instid0(VALU_DEP_2) | instskip(NEXT) | instid1(VALU_DEP_4)
	v_lshlrev_b64_e32 v[28:29], 3, v[28:29]
	v_add_co_u32 v14, s0, v0, v14
	s_wait_alu 0xf1ff
	v_add_co_ci_u32_e64 v15, s0, v4, v15, s0
	s_delay_alu instid0(VALU_DEP_4)
	v_add_co_u32 v30, s0, v0, v24
	s_wait_alu 0xf1ff
	v_add_co_ci_u32_e64 v31, s0, v4, v25, s0
	v_add_co_u32 v28, s0, v0, v28
	s_wait_alu 0xf1ff
	v_add_co_ci_u32_e64 v29, s0, v4, v29, s0
	s_clause 0x2
	global_load_b64 v[24:25], v[14:15], off
	global_load_b64 v[54:55], v[30:31], off
	;; [unrolled: 1-line block ×3, first 2 shown]
.LBB0_14:
	s_wait_alu 0xfffe
	s_or_b32 exec_lo, exec_lo, s4
.LBB0_15:
	s_delay_alu instid0(SALU_CYCLE_1)
	s_or_b32 exec_lo, exec_lo, s1
	s_wait_loadcnt 0x9
	v_sub_f32_e32 v8, v27, v13
	v_add_f32_e32 v0, v26, v12
	v_add_f32_e32 v4, v18, v26
	s_wait_loadcnt 0x6
	v_add_f32_e32 v10, v44, v48
	v_cmp_gt_u32_e64 s1, 34, v3
	v_fmac_f32_e32 v18, -0.5, v0
	v_add_f32_e32 v0, v16, v44
	s_delay_alu instid0(VALU_DEP_4) | instskip(SKIP_1) | instid1(VALU_DEP_3)
	v_fmac_f32_e32 v16, -0.5, v10
	v_mad_i32_i24 v10, v11, 12, 0
	v_add_f32_e32 v29, v0, v48
	v_add_f32_e32 v14, v4, v12
	v_sub_f32_e32 v4, v45, v49
	s_wait_loadcnt 0x4
	v_add_f32_e32 v0, v20, v50
	s_delay_alu instid0(VALU_DEP_2)
	v_fmamk_f32 v32, v4, 0xbf5db3d7, v16
	v_fmac_f32_e32 v16, 0x3f5db3d7, v4
	s_wait_loadcnt 0x1
	v_add_f32_e32 v4, v22, v42
	v_add_f32_e32 v30, v0, v46
	s_wait_loadcnt 0x0
	v_add_f32_e32 v0, v42, v40
	s_delay_alu instid0(VALU_DEP_3)
	v_add_f32_e32 v35, v4, v40
	v_fmamk_f32 v15, v8, 0xbf5db3d7, v18
	v_fmac_f32_e32 v18, 0x3f5db3d7, v8
	v_sub_f32_e32 v8, v51, v47
	v_add_f32_e32 v28, v50, v46
	v_fmac_f32_e32 v22, -0.5, v0
	v_sub_f32_e32 v0, v43, v41
	v_add_f32_e32 v4, v24, v54
	s_delay_alu instid0(VALU_DEP_4) | instskip(NEXT) | instid1(VALU_DEP_3)
	v_fmac_f32_e32 v20, -0.5, v28
	v_fmamk_f32 v36, v0, 0xbf5db3d7, v22
	v_fmac_f32_e32 v22, 0x3f5db3d7, v0
	v_mad_u32_u24 v0, v3, 12, 0
	s_delay_alu instid0(VALU_DEP_4)
	v_fmamk_f32 v31, v8, 0xbf5db3d7, v20
	v_fmac_f32_e32 v20, 0x3f5db3d7, v8
	v_add_f32_e32 v8, v56, v54
	v_add_f32_e32 v38, v56, v4
	v_mad_i32_i24 v4, v7, 12, 0
	ds_store_2addr_b32 v0, v14, v15 offset1:1
	ds_store_b32 v0, v18 offset:8
	ds_store_2addr_b32 v4, v29, v32 offset1:1
	ds_store_b32 v4, v16 offset:8
	v_fmac_f32_e32 v24, -0.5, v8
	v_sub_f32_e32 v8, v55, v57
	v_add_nc_u32_e32 v4, 0x990, v0
	s_delay_alu instid0(VALU_DEP_2)
	v_fmamk_f32 v39, v8, 0xbf5db3d7, v24
	v_fmac_f32_e32 v24, 0x3f5db3d7, v8
	v_mad_i32_i24 v8, v9, 12, 0
	ds_store_2addr_b32 v8, v30, v31 offset1:1
	ds_store_b32 v8, v20 offset:8
	ds_store_2addr_b32 v10, v35, v36 offset1:1
	ds_store_b32 v10, v22 offset:8
	s_and_saveexec_b32 s0, s1
	s_cbranch_execz .LBB0_17
; %bb.16:
	ds_store_2addr_b32 v4, v38, v39 offset1:1
	ds_store_b32 v0, v24 offset:2456
.LBB0_17:
	s_wait_alu 0xfffe
	s_or_b32 exec_lo, exec_lo, s0
	v_mul_i32_i24_e32 v59, 12, v7
	v_mul_i32_i24_e32 v58, 12, v9
	;; [unrolled: 1-line block ×3, first 2 shown]
	v_cmp_gt_u32_e64 s0, 42, v3
	global_wb scope:SCOPE_SE
	s_wait_dscnt 0x0
	s_wait_kmcnt 0x0
	s_barrier_signal -1
	s_barrier_wait -1
	global_inv scope:SCOPE_SE
                                        ; implicit-def: $vgpr8
                                        ; implicit-def: $vgpr53
	s_and_saveexec_b32 s4, s0
	s_cbranch_execz .LBB0_19
; %bb.18:
	v_lshlrev_b32_e32 v8, 3, v3
	s_delay_alu instid0(VALU_DEP_1) | instskip(NEXT) | instid1(VALU_DEP_1)
	v_sub_nc_u32_e32 v8, v0, v8
	v_add_nc_u32_e32 v14, 0x400, v8
	ds_load_2addr_b32 v[28:29], v8 offset0:84 offset1:126
	ds_load_2addr_b32 v[32:33], v8 offset0:168 offset1:210
	v_add_nc_u32_e32 v15, 0x800, v8
	v_add_nc_u32_e32 v16, 0x200, v8
	;; [unrolled: 1-line block ×3, first 2 shown]
	ds_load_2addr_b32 v[34:35], v14 offset0:80 offset1:122
	ds_load_2addr_b32 v[36:37], v14 offset0:164 offset1:206
	;; [unrolled: 1-line block ×3, first 2 shown]
	ds_load_2addr_b32 v[14:15], v8 offset1:42
	ds_load_b32 v8, v8 offset:2688
	ds_load_2addr_b32 v[30:31], v16 offset0:124 offset1:166
	ds_load_2addr_b32 v[38:39], v18 offset0:120 offset1:162
	s_wait_dscnt 0x6
	v_mov_b32_e32 v20, v34
	v_mov_b32_e32 v18, v28
	;; [unrolled: 1-line block ×3, first 2 shown]
	s_wait_dscnt 0x5
	v_mov_b32_e32 v22, v37
	s_wait_dscnt 0x4
	v_mov_b32_e32 v24, v52
.LBB0_19:
	s_wait_alu 0xfffe
	s_or_b32 exec_lo, exec_lo, s4
	v_dual_sub_f32 v26, v26, v12 :: v_dual_add_f32 v33, v45, v49
	v_add_f32_e32 v28, v27, v13
	v_add_f32_e32 v27, v19, v27
	;; [unrolled: 1-line block ×3, first 2 shown]
	global_wb scope:SCOPE_SE
	s_wait_dscnt 0x0
	s_barrier_signal -1
	v_dual_fmac_f32 v19, -0.5, v28 :: v_dual_add_f32 v28, v17, v45
	v_add_f32_e32 v12, v27, v13
	v_fmac_f32_e32 v17, -0.5, v33
	v_add_f32_e32 v33, v43, v41
	s_delay_alu instid0(VALU_DEP_4) | instskip(SKIP_4) | instid1(VALU_DEP_3)
	v_fmamk_f32 v13, v26, 0x3f5db3d7, v19
	v_dual_fmac_f32 v19, 0xbf5db3d7, v26 :: v_dual_add_f32 v34, v28, v49
	v_sub_f32_e32 v26, v44, v48
	v_dual_sub_f32 v28, v50, v46 :: v_dual_add_f32 v27, v21, v51
	v_fmac_f32_e32 v21, -0.5, v37
	v_dual_add_f32 v37, v23, v43 :: v_dual_fmamk_f32 v44, v26, 0x3f5db3d7, v17
	s_delay_alu instid0(VALU_DEP_3) | instskip(NEXT) | instid1(VALU_DEP_3)
	v_dual_fmac_f32 v17, 0xbf5db3d7, v26 :: v_dual_add_f32 v26, v27, v47
	v_fmamk_f32 v27, v28, 0x3f5db3d7, v21
	v_dual_fmac_f32 v21, 0xbf5db3d7, v28 :: v_dual_add_f32 v28, v57, v55
	v_fmac_f32_e32 v23, -0.5, v33
	v_dual_sub_f32 v33, v42, v40 :: v_dual_add_nc_u32 v10, 0, v10
	s_delay_alu instid0(VALU_DEP_3)
	v_dual_add_f32 v40, v25, v55 :: v_dual_fmac_f32 v25, -0.5, v28
	v_sub_f32_e32 v28, v54, v56
	s_barrier_wait -1
	global_inv scope:SCOPE_SE
	v_add_f32_e32 v46, v57, v40
	v_fmamk_f32 v42, v33, 0x3f5db3d7, v23
	v_add_f32_e32 v41, v37, v41
	v_fmac_f32_e32 v23, 0xbf5db3d7, v33
	v_fmamk_f32 v47, v28, 0x3f5db3d7, v25
	v_dual_fmac_f32 v25, 0xbf5db3d7, v28 :: v_dual_add_nc_u32 v28, 0, v59
	v_add_nc_u32_e32 v33, 0, v58
	ds_store_2addr_b32 v0, v12, v13 offset1:1
	ds_store_b32 v0, v19 offset:8
	ds_store_2addr_b32 v28, v34, v44 offset1:1
	ds_store_b32 v28, v17 offset:8
	;; [unrolled: 2-line block ×4, first 2 shown]
	s_and_saveexec_b32 s4, s1
	s_cbranch_execz .LBB0_21
; %bb.20:
	ds_store_2addr_b32 v4, v46, v47 offset1:1
	ds_store_b32 v0, v25 offset:2456
.LBB0_21:
	s_wait_alu 0xfffe
	s_or_b32 exec_lo, exec_lo, s4
	v_lshl_add_u32 v0, v3, 2, 0
	global_wb scope:SCOPE_SE
	s_wait_dscnt 0x0
	s_barrier_signal -1
	s_barrier_wait -1
	global_inv scope:SCOPE_SE
                                        ; implicit-def: $vgpr63
                                        ; implicit-def: $vgpr49
	s_and_saveexec_b32 s1, s0
	s_cbranch_execz .LBB0_23
; %bb.22:
	ds_load_2addr_b32 v[44:45], v0 offset0:168 offset1:210
	v_add_nc_u32_e32 v4, 0x400, v0
	v_add_nc_u32_e32 v10, 0x800, v0
	ds_load_2addr_b32 v[33:34], v0 offset0:84 offset1:126
	v_add_nc_u32_e32 v17, 0x200, v0
	ds_load_2addr_b32 v[40:41], v4 offset0:80 offset1:122
	ds_load_2addr_b32 v[42:43], v4 offset0:164 offset1:206
	;; [unrolled: 1-line block ×3, first 2 shown]
	s_wait_dscnt 0x3
	v_dual_mov_b32 v19, v33 :: v_dual_add_nc_u32 v4, 0x600, v0
	s_wait_dscnt 0x2
	v_mov_b32_e32 v21, v40
	s_wait_dscnt 0x1
	v_mov_b32_e32 v23, v43
	ds_load_2addr_b32 v[12:13], v0 offset1:42
	ds_load_b32 v63, v0 offset:2688
	ds_load_2addr_b32 v[26:27], v17 offset0:124 offset1:166
	ds_load_2addr_b32 v[46:47], v4 offset0:120 offset1:162
	v_mov_b32_e32 v17, v45
	s_wait_dscnt 0x4
	v_mov_b32_e32 v25, v48
.LBB0_23:
	s_wait_alu 0xfffe
	s_or_b32 exec_lo, exec_lo, s1
	v_and_b32_e32 v4, 0xff, v3
	s_delay_alu instid0(VALU_DEP_1) | instskip(NEXT) | instid1(VALU_DEP_1)
	v_mul_lo_u16 v4, 0xab, v4
	v_lshrrev_b16 v4, 9, v4
	s_delay_alu instid0(VALU_DEP_1) | instskip(NEXT) | instid1(VALU_DEP_1)
	v_mul_lo_u16 v10, v4, 3
	v_sub_nc_u16 v10, v3, v10
	s_delay_alu instid0(VALU_DEP_1) | instskip(NEXT) | instid1(VALU_DEP_1)
	v_and_b32_e32 v92, 0xff, v10
	v_lshlrev_b32_e32 v10, 7, v92
	s_clause 0x7
	global_load_b128 v[56:59], v10, s[8:9]
	global_load_b128 v[64:67], v10, s[8:9] offset:16
	global_load_b128 v[68:71], v10, s[8:9] offset:32
	;; [unrolled: 1-line block ×7, first 2 shown]
	v_and_b32_e32 v4, 0xffff, v4
	global_wb scope:SCOPE_SE
	s_wait_loadcnt_dscnt 0x0
	s_barrier_signal -1
	s_barrier_wait -1
	global_inv scope:SCOPE_SE
	v_mul_f32_e32 v60, v13, v57
	v_mul_f32_e32 v43, v15, v57
	;; [unrolled: 1-line block ×3, first 2 shown]
	v_dual_mul_f32 v48, v18, v59 :: v_dual_mul_f32 v33, v27, v73
	v_mul_f32_e32 v54, v34, v65
	v_mul_f32_e32 v10, v29, v65
	;; [unrolled: 1-line block ×3, first 2 shown]
	v_dual_mul_f32 v40, v32, v67 :: v_dual_mul_f32 v67, v22, v81
	v_mul_f32_e32 v45, v17, v69
	v_dual_mul_f32 v62, v16, v69 :: v_dual_fmac_f32 v57, v18, v58
	v_mul_f32_e32 v37, v26, v71
	v_dual_mul_f32 v65, v30, v71 :: v_dual_mul_f32 v28, v41, v77
	v_fmac_f32_e32 v33, v31, v72
	v_fma_f32 v51, v44, v66, -v40
	v_mul_f32_e32 v40, v23, v81
	v_mul_f32_e32 v44, v46, v83
	;; [unrolled: 1-line block ×3, first 2 shown]
	v_fma_f32 v55, v34, v64, -v10
	v_dual_mul_f32 v10, v21, v75 :: v_dual_fmac_f32 v45, v16, v68
	v_dual_mul_f32 v34, v20, v75 :: v_dual_mul_f32 v59, v49, v89
	v_fma_f32 v58, v19, v58, -v48
	v_mul_f32_e32 v52, v47, v85
	v_mul_f32_e32 v18, v39, v85
	v_fmac_f32_e32 v60, v15, v56
	v_fma_f32 v61, v13, v56, -v43
	v_mul_f32_e32 v56, v25, v87
	v_dual_mul_f32 v13, v24, v87 :: v_dual_fmac_f32 v54, v29, v64
	v_fmac_f32_e32 v37, v30, v70
	v_dual_mul_f32 v29, v31, v73 :: v_dual_fmac_f32 v50, v32, v66
	v_mul_f32_e32 v15, v53, v89
	v_dual_mul_f32 v64, v35, v77 :: v_dual_fmac_f32 v59, v53, v88
	v_mul_f32_e32 v32, v42, v79
	v_mul_f32_e32 v66, v36, v79
	v_fma_f32 v48, v17, v68, -v62
	v_mul_f32_e32 v62, v63, v91
	v_mul_f32_e32 v16, v8, v91
	v_fma_f32 v43, v26, v70, -v65
	v_fma_f32 v30, v27, v72, -v29
	v_fmac_f32_e32 v10, v20, v74
	v_fma_f32 v27, v21, v74, -v34
	v_fmac_f32_e32 v28, v35, v76
	;; [unrolled: 2-line block ×7, first 2 shown]
	v_fma_f32 v47, v25, v86, -v13
	v_fma_f32 v53, v49, v88, -v15
	v_fmac_f32_e32 v62, v8, v90
	v_fma_f32 v49, v63, v90, -v16
	v_lshlrev_b32_e32 v8, 2, v92
	s_and_saveexec_b32 s1, s0
	s_cbranch_execz .LBB0_25
; %bb.24:
	s_delay_alu instid0(VALU_DEP_2) | instskip(SKIP_1) | instid1(VALU_DEP_2)
	v_dual_sub_f32 v22, v61, v49 :: v_dual_add_f32 v13, v54, v56
	v_dual_add_f32 v20, v60, v62 :: v_dual_add_f32 v17, v57, v59
	v_dual_sub_f32 v25, v58, v53 :: v_dual_mul_f32 v36, 0xbe3c28d5, v22
	v_dual_sub_f32 v26, v55, v47 :: v_dual_add_f32 v15, v50, v52
	s_delay_alu instid0(VALU_DEP_2) | instskip(NEXT) | instid1(VALU_DEP_3)
	v_dual_sub_f32 v23, v51, v46 :: v_dual_mul_f32 v38, 0x3eb8f4ab, v25
	v_fma_f32 v18, 0xbf7ba420, v20, -v36
	s_delay_alu instid0(VALU_DEP_3) | instskip(SKIP_1) | instid1(VALU_DEP_4)
	v_dual_add_f32 v16, v45, v44 :: v_dual_mul_f32 v39, 0xbf06c442, v26
	v_dual_sub_f32 v24, v48, v42 :: v_dual_sub_f32 v31, v43, v41
	v_fma_f32 v19, 0x3f6eb680, v17, -v38
	s_delay_alu instid0(VALU_DEP_4) | instskip(NEXT) | instid1(VALU_DEP_4)
	v_dual_add_f32 v21, v14, v18 :: v_dual_add_f32 v18, v37, v40
	v_fma_f32 v64, 0xbf59a7d5, v13, -v39
	v_dual_sub_f32 v35, v30, v34 :: v_dual_fmac_f32 v38, 0x3f6eb680, v17
	s_delay_alu instid0(VALU_DEP_3) | instskip(SKIP_3) | instid1(VALU_DEP_4)
	v_dual_add_f32 v19, v19, v21 :: v_dual_fmac_f32 v36, 0xbf7ba420, v20
	v_add_f32_e32 v21, v33, v32
	v_mul_f32_e32 v65, 0xbf4c4adb, v24
	v_mul_f32_e32 v67, 0x3f65296c, v31
	v_add_f32_e32 v64, v64, v19
	v_dual_add_f32 v36, v14, v36 :: v_dual_mul_f32 v63, 0x3f2c7751, v23
	v_add_f32_e32 v19, v10, v28
	s_delay_alu instid0(VALU_DEP_4)
	v_fma_f32 v69, 0x3ee437d1, v18, -v67
	v_mul_f32_e32 v77, 0xbf65296c, v23
	v_fmac_f32_e32 v39, 0xbf59a7d5, v13
	v_fma_f32 v66, 0x3f3d2fb0, v15, -v63
	v_mul_f32_e32 v71, 0xbf7ee86f, v26
	v_fmac_f32_e32 v67, 0x3ee437d1, v18
	v_mul_f32_e32 v74, 0xbeb8f4ab, v26
	v_mul_f32_e32 v76, 0x3f2c7751, v26
	v_add_f32_e32 v64, v66, v64
	v_dual_add_f32 v36, v38, v36 :: v_dual_fmac_f32 v63, 0x3f3d2fb0, v15
	v_sub_f32_e32 v38, v27, v29
	v_fma_f32 v68, 0xbf1a4643, v16, -v65
	v_mul_f32_e32 v66, 0xbf763a35, v35
	s_delay_alu instid0(VALU_DEP_4) | instskip(NEXT) | instid1(VALU_DEP_3)
	v_add_f32_e32 v36, v39, v36
	v_add_f32_e32 v64, v68, v64
	v_mul_f32_e32 v68, 0xbf06c442, v22
	s_delay_alu instid0(VALU_DEP_4) | instskip(NEXT) | instid1(VALU_DEP_4)
	v_fma_f32 v70, 0xbe8c1d8e, v21, -v66
	v_dual_add_f32 v36, v63, v36 :: v_dual_mul_f32 v63, 0x3f7ee86f, v38
	s_delay_alu instid0(VALU_DEP_4) | instskip(NEXT) | instid1(VALU_DEP_4)
	v_dual_add_f32 v64, v69, v64 :: v_dual_mul_f32 v69, 0x3f65296c, v25
	v_fma_f32 v39, 0xbf59a7d5, v20, -v68
	v_fmac_f32_e32 v66, 0xbe8c1d8e, v21
	v_fmac_f32_e32 v65, 0xbf1a4643, v16
	s_delay_alu instid0(VALU_DEP_4) | instskip(SKIP_1) | instid1(VALU_DEP_3)
	v_add_f32_e32 v64, v70, v64
	v_fma_f32 v70, 0x3ee437d1, v17, -v69
	v_dual_add_f32 v39, v14, v39 :: v_dual_add_f32 v36, v65, v36
	v_fma_f32 v65, 0x3dbcf732, v19, -v63
	v_fmac_f32_e32 v63, 0x3dbcf732, v19
	s_delay_alu instid0(VALU_DEP_3) | instskip(SKIP_2) | instid1(VALU_DEP_2)
	v_add_f32_e32 v39, v70, v39
	v_fma_f32 v70, 0x3dbcf732, v13, -v71
	v_dual_mul_f32 v72, 0x3f4c4adb, v23 :: v_dual_add_f32 v67, v67, v36
	v_dual_add_f32 v36, v65, v64 :: v_dual_add_f32 v39, v70, v39
	s_delay_alu instid0(VALU_DEP_2) | instskip(NEXT) | instid1(VALU_DEP_3)
	v_fma_f32 v64, 0xbf1a4643, v15, -v72
	v_dual_mul_f32 v65, 0xbeb8f4ab, v24 :: v_dual_add_f32 v66, v66, v67
	v_fmac_f32_e32 v68, 0xbf59a7d5, v20
	v_mul_f32_e32 v70, 0xbe3c28d5, v31
	s_delay_alu instid0(VALU_DEP_4) | instskip(NEXT) | instid1(VALU_DEP_4)
	v_add_f32_e32 v64, v64, v39
	v_fma_f32 v67, 0x3f6eb680, v16, -v65
	v_add_f32_e32 v39, v63, v66
	v_add_f32_e32 v63, v14, v68
	v_fmac_f32_e32 v69, 0x3ee437d1, v17
	v_fma_f32 v66, 0xbf7ba420, v18, -v70
	v_dual_add_f32 v64, v67, v64 :: v_dual_mul_f32 v67, 0xbf4c4adb, v22
	v_fmac_f32_e32 v72, 0xbf1a4643, v15
	v_fmac_f32_e32 v65, 0x3f6eb680, v16
	;; [unrolled: 1-line block ×3, first 2 shown]
	s_delay_alu instid0(VALU_DEP_4) | instskip(SKIP_2) | instid1(VALU_DEP_2)
	v_add_f32_e32 v64, v66, v64
	v_fma_f32 v66, 0xbf1a4643, v20, -v67
	v_add_f32_e32 v63, v69, v63
	v_dual_fmac_f32 v71, 0x3dbcf732, v13 :: v_dual_add_f32 v66, v14, v66
	v_mul_f32_e32 v69, 0x3f763a35, v25
	s_delay_alu instid0(VALU_DEP_2) | instskip(NEXT) | instid1(VALU_DEP_2)
	v_add_f32_e32 v63, v71, v63
	v_fma_f32 v71, 0xbe8c1d8e, v17, -v69
	s_delay_alu instid0(VALU_DEP_2) | instskip(SKIP_1) | instid1(VALU_DEP_3)
	v_add_f32_e32 v63, v72, v63
	v_mul_f32_e32 v72, 0xbf06c442, v23
	v_add_f32_e32 v66, v71, v66
	v_fma_f32 v71, 0x3f6eb680, v13, -v74
	v_mul_f32_e32 v68, 0x3f2c7751, v35
	v_dual_fmac_f32 v74, 0x3f6eb680, v13 :: v_dual_add_f32 v63, v65, v63
	v_fmac_f32_e32 v69, 0xbe8c1d8e, v17
	s_delay_alu instid0(VALU_DEP_4) | instskip(SKIP_4) | instid1(VALU_DEP_4)
	v_add_f32_e32 v65, v71, v66
	v_fma_f32 v66, 0xbf59a7d5, v15, -v72
	v_mul_f32_e32 v71, 0x3f7ee86f, v24
	v_fma_f32 v73, 0x3f3d2fb0, v21, -v68
	v_dual_fmac_f32 v68, 0x3f3d2fb0, v21 :: v_dual_add_f32 v63, v70, v63
	v_add_f32_e32 v65, v66, v65
	s_delay_alu instid0(VALU_DEP_4) | instskip(NEXT) | instid1(VALU_DEP_4)
	v_fma_f32 v66, 0x3dbcf732, v16, -v71
	v_dual_add_f32 v64, v73, v64 :: v_dual_mul_f32 v73, 0xbf763a35, v38
	s_delay_alu instid0(VALU_DEP_2) | instskip(NEXT) | instid1(VALU_DEP_2)
	v_dual_add_f32 v65, v66, v65 :: v_dual_mul_f32 v70, 0xbf2c7751, v31
	v_fma_f32 v75, 0xbe8c1d8e, v19, -v73
	s_delay_alu instid0(VALU_DEP_2) | instskip(NEXT) | instid1(VALU_DEP_2)
	v_fma_f32 v66, 0x3f3d2fb0, v18, -v70
	v_dual_add_f32 v64, v75, v64 :: v_dual_mul_f32 v75, 0xbf763a35, v22
	s_delay_alu instid0(VALU_DEP_2) | instskip(SKIP_2) | instid1(VALU_DEP_1)
	v_add_f32_e32 v65, v66, v65
	v_dual_add_f32 v63, v68, v63 :: v_dual_fmac_f32 v70, 0x3f3d2fb0, v18
	v_mul_f32_e32 v68, 0xbe3c28d5, v35
	v_fma_f32 v66, 0xbf7ba420, v21, -v68
	s_delay_alu instid0(VALU_DEP_1) | instskip(SKIP_3) | instid1(VALU_DEP_3)
	v_add_f32_e32 v65, v66, v65
	v_fma_f32 v66, 0xbe8c1d8e, v20, -v75
	v_fmac_f32_e32 v75, 0xbe8c1d8e, v20
	v_fmac_f32_e32 v68, 0xbf7ba420, v21
	v_dual_add_f32 v66, v14, v66 :: v_dual_fmac_f32 v67, 0xbf1a4643, v20
	v_fmac_f32_e32 v71, 0x3dbcf732, v16
	s_delay_alu instid0(VALU_DEP_2) | instskip(NEXT) | instid1(VALU_DEP_1)
	v_add_f32_e32 v67, v14, v67
	v_add_f32_e32 v67, v69, v67
	v_mul_f32_e32 v69, 0x3f06c442, v25
	s_delay_alu instid0(VALU_DEP_2) | instskip(NEXT) | instid1(VALU_DEP_2)
	v_add_f32_e32 v67, v74, v67
	v_fma_f32 v74, 0xbf59a7d5, v17, -v69
	s_delay_alu instid0(VALU_DEP_1) | instskip(SKIP_2) | instid1(VALU_DEP_2)
	v_add_f32_e32 v66, v74, v66
	v_fma_f32 v74, 0x3f3d2fb0, v13, -v76
	v_fmac_f32_e32 v76, 0x3f3d2fb0, v13
	v_add_f32_e32 v66, v74, v66
	v_add_f32_e32 v74, v14, v75
	v_dual_fmac_f32 v72, 0xbf59a7d5, v15 :: v_dual_fmac_f32 v69, 0xbf59a7d5, v17
	v_mul_f32_e32 v75, 0xbe3c28d5, v25
	s_delay_alu instid0(VALU_DEP_2) | instskip(NEXT) | instid1(VALU_DEP_3)
	v_add_f32_e32 v67, v72, v67
	v_add_f32_e32 v69, v69, v74
	s_delay_alu instid0(VALU_DEP_2) | instskip(SKIP_2) | instid1(VALU_DEP_4)
	v_add_f32_e32 v67, v71, v67
	v_fma_f32 v71, 0x3ee437d1, v15, -v77
	v_fmac_f32_e32 v73, 0xbe8c1d8e, v19
	v_dual_add_f32 v69, v76, v69 :: v_dual_mul_f32 v76, 0x3f763a35, v26
	s_delay_alu instid0(VALU_DEP_3) | instskip(NEXT) | instid1(VALU_DEP_3)
	v_dual_add_f32 v67, v70, v67 :: v_dual_add_f32 v66, v71, v66
	v_add_f32_e32 v63, v73, v63
	v_mul_f32_e32 v73, 0x3f65296c, v38
	v_mul_f32_e32 v71, 0x3f7ee86f, v31
	s_delay_alu instid0(VALU_DEP_2) | instskip(SKIP_1) | instid1(VALU_DEP_2)
	v_fma_f32 v72, 0x3ee437d1, v19, -v73
	v_fmac_f32_e32 v73, 0x3ee437d1, v19
	v_dual_add_f32 v65, v72, v65 :: v_dual_mul_f32 v72, 0xbe3c28d5, v24
	s_delay_alu instid0(VALU_DEP_1) | instskip(SKIP_1) | instid1(VALU_DEP_2)
	v_fma_f32 v70, 0xbf7ba420, v16, -v72
	v_fmac_f32_e32 v72, 0xbf7ba420, v16
	v_add_f32_e32 v66, v70, v66
	v_mul_f32_e32 v70, 0xbeb8f4ab, v35
	v_add_f32_e32 v67, v68, v67
	v_fma_f32 v68, 0x3dbcf732, v18, -v71
	s_delay_alu instid0(VALU_DEP_3) | instskip(SKIP_1) | instid1(VALU_DEP_3)
	v_fma_f32 v74, 0x3f6eb680, v21, -v70
	v_fmac_f32_e32 v70, 0x3f6eb680, v21
	v_add_f32_e32 v66, v68, v66
	v_dual_mul_f32 v68, 0xbf7ee86f, v22 :: v_dual_add_f32 v67, v73, v67
	s_delay_alu instid0(VALU_DEP_2) | instskip(NEXT) | instid1(VALU_DEP_2)
	v_add_f32_e32 v66, v74, v66
	v_fma_f32 v73, 0x3dbcf732, v20, -v68
	v_fmac_f32_e32 v68, 0x3dbcf732, v20
	v_fma_f32 v74, 0xbf7ba420, v17, -v75
	v_fmac_f32_e32 v75, 0xbf7ba420, v17
	s_delay_alu instid0(VALU_DEP_4) | instskip(NEXT) | instid1(VALU_DEP_4)
	v_add_f32_e32 v73, v14, v73
	v_dual_add_f32 v68, v14, v68 :: v_dual_fmac_f32 v77, 0x3ee437d1, v15
	s_delay_alu instid0(VALU_DEP_1) | instskip(SKIP_2) | instid1(VALU_DEP_3)
	v_dual_add_f32 v68, v75, v68 :: v_dual_add_f32 v69, v77, v69
	v_mul_f32_e32 v77, 0xbf4c4adb, v38
	v_mul_f32_e32 v75, 0x3f2c7751, v38
	v_add_f32_e32 v69, v72, v69
	s_delay_alu instid0(VALU_DEP_3) | instskip(NEXT) | instid1(VALU_DEP_1)
	v_fma_f32 v78, 0xbf1a4643, v19, -v77
	v_add_f32_e32 v66, v78, v66
	v_mul_f32_e32 v78, 0x3f4c4adb, v35
	v_add_f32_e32 v72, v74, v73
	v_fma_f32 v73, 0xbe8c1d8e, v13, -v76
	v_fmac_f32_e32 v76, 0xbe8c1d8e, v13
	v_mul_f32_e32 v74, 0x3eb8f4ab, v23
	s_delay_alu instid0(VALU_DEP_2) | instskip(NEXT) | instid1(VALU_DEP_1)
	v_dual_add_f32 v68, v76, v68 :: v_dual_fmac_f32 v71, 0x3dbcf732, v18
	v_add_f32_e32 v69, v71, v69
	v_add_f32_e32 v71, v73, v72
	s_delay_alu instid0(VALU_DEP_4) | instskip(SKIP_1) | instid1(VALU_DEP_4)
	v_fma_f32 v72, 0x3f6eb680, v15, -v74
	v_mul_f32_e32 v73, 0xbf65296c, v24
	v_dual_fmac_f32 v74, 0x3f6eb680, v15 :: v_dual_add_f32 v69, v70, v69
	s_delay_alu instid0(VALU_DEP_3) | instskip(NEXT) | instid1(VALU_DEP_3)
	v_add_f32_e32 v70, v72, v71
	v_fma_f32 v71, 0x3ee437d1, v16, -v73
	v_mul_f32_e32 v72, 0xbf06c442, v31
	s_delay_alu instid0(VALU_DEP_4) | instskip(NEXT) | instid1(VALU_DEP_3)
	v_add_f32_e32 v68, v74, v68
	v_add_f32_e32 v70, v71, v70
	s_delay_alu instid0(VALU_DEP_3) | instskip(SKIP_1) | instid1(VALU_DEP_2)
	v_fma_f32 v71, 0xbf59a7d5, v18, -v72
	v_fmac_f32_e32 v72, 0xbf59a7d5, v18
	v_add_f32_e32 v70, v71, v70
	v_fma_f32 v71, 0xbf1a4643, v21, -v78
	v_fmac_f32_e32 v78, 0xbf1a4643, v21
	s_delay_alu instid0(VALU_DEP_2) | instskip(SKIP_2) | instid1(VALU_DEP_3)
	v_dual_add_f32 v70, v71, v70 :: v_dual_fmac_f32 v73, 0x3ee437d1, v16
	v_fmac_f32_e32 v77, 0xbf1a4643, v19
	v_fma_f32 v71, 0x3f3d2fb0, v19, -v75
	v_add_f32_e32 v68, v73, v68
	s_delay_alu instid0(VALU_DEP_2) | instskip(NEXT) | instid1(VALU_DEP_2)
	v_dual_add_f32 v70, v71, v70 :: v_dual_add_f32 v69, v77, v69
	v_dual_add_f32 v68, v72, v68 :: v_dual_mul_f32 v79, 0xbf4c4adb, v25
	s_delay_alu instid0(VALU_DEP_1) | instskip(NEXT) | instid1(VALU_DEP_2)
	v_add_f32_e32 v68, v78, v68
	v_fma_f32 v74, 0xbf1a4643, v17, -v79
	v_fmac_f32_e32 v79, 0xbf1a4643, v17
	v_mul_f32_e32 v77, 0xbf65296c, v22
	s_delay_alu instid0(VALU_DEP_1) | instskip(SKIP_1) | instid1(VALU_DEP_2)
	v_fma_f32 v76, 0x3ee437d1, v20, -v77
	v_fmac_f32_e32 v77, 0x3ee437d1, v20
	v_dual_add_f32 v71, v14, v76 :: v_dual_mul_f32 v76, 0x3e3c28d5, v26
	s_delay_alu instid0(VALU_DEP_2) | instskip(NEXT) | instid1(VALU_DEP_2)
	v_dual_add_f32 v72, v14, v77 :: v_dual_mul_f32 v77, 0x3f2c7751, v24
	v_fma_f32 v73, 0xbf7ba420, v13, -v76
	s_delay_alu instid0(VALU_DEP_2) | instskip(NEXT) | instid1(VALU_DEP_4)
	v_add_f32_e32 v72, v79, v72
	v_dual_fmac_f32 v76, 0xbf7ba420, v13 :: v_dual_add_f32 v71, v74, v71
	v_mul_f32_e32 v74, 0x3f763a35, v23
	s_delay_alu instid0(VALU_DEP_2) | instskip(NEXT) | instid1(VALU_DEP_2)
	v_dual_add_f32 v72, v76, v72 :: v_dual_add_f32 v71, v73, v71
	v_fma_f32 v73, 0xbe8c1d8e, v15, -v74
	v_fmac_f32_e32 v74, 0xbe8c1d8e, v15
	v_mul_f32_e32 v76, 0xbf7ee86f, v35
	s_delay_alu instid0(VALU_DEP_2) | instskip(NEXT) | instid1(VALU_DEP_4)
	v_add_f32_e32 v72, v74, v72
	v_dual_mul_f32 v74, 0xbf2c7751, v22 :: v_dual_add_f32 v71, v73, v71
	v_fma_f32 v73, 0x3f3d2fb0, v16, -v77
	v_fmac_f32_e32 v77, 0x3f3d2fb0, v16
	v_fmac_f32_e32 v75, 0x3f3d2fb0, v19
	v_mul_f32_e32 v22, 0xbeb8f4ab, v22
	s_delay_alu instid0(VALU_DEP_3) | instskip(NEXT) | instid1(VALU_DEP_3)
	v_dual_add_f32 v72, v77, v72 :: v_dual_mul_f32 v79, 0xbeb8f4ab, v31
	v_dual_add_f32 v68, v75, v68 :: v_dual_add_f32 v71, v73, v71
	v_mul_f32_e32 v75, 0xbf7ee86f, v25
	v_mul_f32_e32 v25, 0xbf2c7751, v25
	s_delay_alu instid0(VALU_DEP_4) | instskip(SKIP_1) | instid1(VALU_DEP_4)
	v_fma_f32 v73, 0x3f6eb680, v18, -v79
	v_fmac_f32_e32 v79, 0x3f6eb680, v18
	v_fma_f32 v78, 0x3dbcf732, v17, -v75
	s_delay_alu instid0(VALU_DEP_2) | instskip(NEXT) | instid1(VALU_DEP_4)
	v_dual_fmac_f32 v75, 0x3dbcf732, v17 :: v_dual_add_f32 v72, v79, v72
	v_add_f32_e32 v71, v73, v71
	v_fma_f32 v73, 0x3dbcf732, v21, -v76
	s_delay_alu instid0(VALU_DEP_1) | instskip(SKIP_2) | instid1(VALU_DEP_2)
	v_dual_fmac_f32 v76, 0x3dbcf732, v21 :: v_dual_add_f32 v71, v73, v71
	v_fma_f32 v73, 0x3f3d2fb0, v20, -v74
	v_fmac_f32_e32 v74, 0x3f3d2fb0, v20
	v_dual_add_f32 v72, v76, v72 :: v_dual_add_f32 v73, v14, v73
	s_delay_alu instid0(VALU_DEP_2) | instskip(NEXT) | instid1(VALU_DEP_2)
	v_add_f32_e32 v74, v14, v74
	v_dual_add_f32 v73, v78, v73 :: v_dual_mul_f32 v78, 0xbe3c28d5, v23
	s_delay_alu instid0(VALU_DEP_2) | instskip(SKIP_1) | instid1(VALU_DEP_2)
	v_dual_add_f32 v74, v75, v74 :: v_dual_add_f32 v75, v14, v60
	v_mul_f32_e32 v23, 0xbf7ee86f, v23
	v_add_f32_e32 v75, v75, v57
	s_delay_alu instid0(VALU_DEP_1) | instskip(NEXT) | instid1(VALU_DEP_1)
	v_add_f32_e32 v75, v75, v54
	v_add_f32_e32 v75, v75, v50
	s_delay_alu instid0(VALU_DEP_1) | instskip(NEXT) | instid1(VALU_DEP_1)
	v_add_f32_e32 v75, v75, v45
	;; [unrolled: 3-line block ×3, first 2 shown]
	v_add_f32_e32 v75, v75, v10
	v_mul_f32_e32 v77, 0xbf06c442, v38
	s_delay_alu instid0(VALU_DEP_1) | instskip(SKIP_3) | instid1(VALU_DEP_3)
	v_fma_f32 v80, 0xbf59a7d5, v19, -v77
	v_fmac_f32_e32 v77, 0xbf59a7d5, v19
	v_mul_f32_e32 v79, 0xbf4c4adb, v26
	v_mul_f32_e32 v26, 0xbf65296c, v26
	v_add_f32_e32 v72, v77, v72
	s_delay_alu instid0(VALU_DEP_3) | instskip(SKIP_2) | instid1(VALU_DEP_3)
	v_fma_f32 v76, 0xbf1a4643, v13, -v79
	v_fmac_f32_e32 v79, 0xbf1a4643, v13
	v_mul_f32_e32 v77, 0x3f06c442, v24
	v_dual_mul_f32 v24, 0xbf763a35, v24 :: v_dual_add_f32 v73, v76, v73
	v_fma_f32 v76, 0xbf7ba420, v15, -v78
	v_fmac_f32_e32 v78, 0xbf7ba420, v15
	s_delay_alu instid0(VALU_DEP_2) | instskip(SKIP_1) | instid1(VALU_DEP_2)
	v_dual_add_f32 v74, v79, v74 :: v_dual_add_f32 v73, v76, v73
	v_fma_f32 v76, 0xbf59a7d5, v16, -v77
	v_add_f32_e32 v74, v78, v74
	v_mul_f32_e32 v78, 0x3eb8f4ab, v38
	v_fmac_f32_e32 v77, 0xbf59a7d5, v16
	s_delay_alu instid0(VALU_DEP_1)
	v_dual_add_f32 v73, v76, v73 :: v_dual_add_f32 v74, v77, v74
	v_fma_f32 v77, 0x3f6eb680, v20, -v22
	v_fmac_f32_e32 v22, 0x3f6eb680, v20
	v_mul_f32_e32 v81, 0x3f763a35, v31
	v_fma_f32 v20, 0x3f3d2fb0, v17, -v25
	v_fmac_f32_e32 v25, 0x3f3d2fb0, v17
	v_fma_f32 v17, 0x3ee437d1, v13, -v26
	v_add_f32_e32 v22, v14, v22
	v_add_f32_e32 v14, v14, v77
	v_fma_f32 v76, 0xbe8c1d8e, v18, -v81
	v_fmac_f32_e32 v26, 0x3ee437d1, v13
	s_delay_alu instid0(VALU_DEP_4) | instskip(NEXT) | instid1(VALU_DEP_4)
	v_dual_add_f32 v22, v25, v22 :: v_dual_mul_f32 v79, 0x3f65296c, v35
	v_add_f32_e32 v13, v20, v14
	s_delay_alu instid0(VALU_DEP_4) | instskip(SKIP_1) | instid1(VALU_DEP_4)
	v_add_f32_e32 v73, v76, v73
	v_fma_f32 v20, 0x3dbcf732, v15, -v23
	v_add_f32_e32 v22, v26, v22
	v_fma_f32 v76, 0x3ee437d1, v21, -v79
	v_add_f32_e32 v13, v17, v13
	s_delay_alu instid0(VALU_DEP_2) | instskip(SKIP_1) | instid1(VALU_DEP_3)
	v_add_f32_e32 v73, v76, v73
	v_fma_f32 v76, 0x3f6eb680, v19, -v78
	v_dual_add_f32 v13, v20, v13 :: v_dual_fmac_f32 v78, 0x3f6eb680, v19
	v_fmac_f32_e32 v23, 0x3dbcf732, v15
	v_fma_f32 v15, 0xbe8c1d8e, v16, -v24
	v_mul_f32_e32 v20, 0xbf06c442, v35
	v_fmac_f32_e32 v24, 0xbe8c1d8e, v16
	s_delay_alu instid0(VALU_DEP_4) | instskip(NEXT) | instid1(VALU_DEP_4)
	v_dual_mul_f32 v17, 0xbf4c4adb, v31 :: v_dual_add_f32 v22, v23, v22
	v_add_f32_e32 v13, v15, v13
	s_delay_alu instid0(VALU_DEP_4) | instskip(SKIP_4) | instid1(VALU_DEP_3)
	v_fma_f32 v15, 0xbf59a7d5, v21, -v20
	v_fmac_f32_e32 v20, 0xbf59a7d5, v21
	v_add_f32_e32 v14, v75, v28
	v_fma_f32 v16, 0xbf1a4643, v18, -v17
	v_add_f32_e32 v22, v24, v22
	v_dual_fmac_f32 v17, 0xbf1a4643, v18 :: v_dual_add_f32 v14, v14, v32
	v_fmac_f32_e32 v81, 0xbe8c1d8e, v18
	v_mul_f32_e32 v18, 0xbe3c28d5, v38
	s_delay_alu instid0(VALU_DEP_3) | instskip(NEXT) | instid1(VALU_DEP_4)
	v_add_f32_e32 v17, v17, v22
	v_dual_add_f32 v13, v16, v13 :: v_dual_add_f32 v14, v14, v40
	s_delay_alu instid0(VALU_DEP_4) | instskip(NEXT) | instid1(VALU_DEP_4)
	v_add_f32_e32 v74, v81, v74
	v_fma_f32 v16, 0xbf7ba420, v19, -v18
	s_delay_alu instid0(VALU_DEP_4) | instskip(NEXT) | instid1(VALU_DEP_4)
	v_dual_add_f32 v17, v20, v17 :: v_dual_fmac_f32 v18, 0xbf7ba420, v19
	v_dual_add_f32 v14, v14, v44 :: v_dual_fmac_f32 v79, 0x3ee437d1, v21
	v_mul_u32_u24_e32 v20, 0xcc, v4
	v_add_f32_e32 v13, v15, v13
	s_delay_alu instid0(VALU_DEP_4) | instskip(NEXT) | instid1(VALU_DEP_4)
	v_add_f32_e32 v15, v18, v17
	v_dual_add_f32 v14, v14, v52 :: v_dual_add_f32 v21, v79, v74
	s_delay_alu instid0(VALU_DEP_4) | instskip(SKIP_2) | instid1(VALU_DEP_4)
	v_add3_u32 v17, 0, v20, v8
	v_add_f32_e32 v19, v80, v71
	v_add_f32_e32 v20, v76, v73
	;; [unrolled: 1-line block ×4, first 2 shown]
	s_delay_alu instid0(VALU_DEP_2) | instskip(NEXT) | instid1(VALU_DEP_1)
	v_dual_add_f32 v13, v16, v13 :: v_dual_add_f32 v14, v14, v59
	v_add_f32_e32 v14, v14, v62
	ds_store_2addr_b32 v17, v14, v15 offset1:3
	ds_store_2addr_b32 v17, v18, v72 offset0:6 offset1:9
	ds_store_2addr_b32 v17, v68, v69 offset0:12 offset1:15
	;; [unrolled: 1-line block ×7, first 2 shown]
	ds_store_b32 v17, v13 offset:192
.LBB0_25:
	s_wait_alu 0xfffe
	s_or_b32 exec_lo, exec_lo, s1
	v_add_nc_u32_e32 v31, 0x400, v0
	v_add_nc_u32_e32 v35, 0x600, v0
	v_add_nc_u32_e32 v36, 0x800, v0
	v_lshl_add_u32 v26, v9, 2, 0
	v_lshl_add_u32 v25, v7, 2, 0
	global_wb scope:SCOPE_SE
	s_wait_dscnt 0x0
	s_barrier_signal -1
	s_barrier_wait -1
	global_inv scope:SCOPE_SE
	ds_load_2addr_b32 v[13:14], v0 offset1:153
	ds_load_2addr_b32 v[15:16], v0 offset0:204 offset1:255
	ds_load_2addr_b32 v[19:20], v31 offset0:50 offset1:101
	;; [unrolled: 1-line block ×5, first 2 shown]
	ds_load_b32 v39, v26
	ds_load_b32 v38, v25
	global_wb scope:SCOPE_SE
	s_wait_dscnt 0x0
	s_barrier_signal -1
	s_barrier_wait -1
	global_inv scope:SCOPE_SE
	s_and_saveexec_b32 s1, s0
	s_cbranch_execz .LBB0_27
; %bb.26:
	v_add_f32_e32 v63, v12, v61
	v_dual_add_f32 v61, v61, v49 :: v_dual_sub_f32 v60, v60, v62
	v_dual_add_f32 v62, v58, v53 :: v_dual_sub_f32 v57, v57, v59
	s_delay_alu instid0(VALU_DEP_2) | instskip(NEXT) | instid1(VALU_DEP_2)
	v_dual_add_f32 v58, v63, v58 :: v_dual_mul_f32 v59, 0x3f6eb680, v61
	v_dual_mul_f32 v65, 0x3dbcf732, v61 :: v_dual_mul_f32 v70, 0x3dbcf732, v62
	v_dual_mul_f32 v68, 0xbf59a7d5, v61 :: v_dual_mul_f32 v73, 0xbf59a7d5, v62
	s_delay_alu instid0(VALU_DEP_3) | instskip(NEXT) | instid1(VALU_DEP_4)
	v_dual_add_f32 v58, v58, v55 :: v_dual_mul_f32 v63, 0x3f3d2fb0, v61
	v_fmamk_f32 v74, v60, 0x3eb8f4ab, v59
	s_delay_alu instid0(VALU_DEP_4) | instskip(NEXT) | instid1(VALU_DEP_3)
	v_dual_fmamk_f32 v77, v60, 0x3f7ee86f, v65 :: v_dual_fmamk_f32 v82, v57, 0x3f7ee86f, v70
	v_dual_add_f32 v58, v58, v51 :: v_dual_mul_f32 v67, 0xbf1a4643, v61
	v_dual_fmac_f32 v65, 0xbf7ee86f, v60 :: v_dual_fmac_f32 v70, 0xbf7ee86f, v57
	v_mul_u32_u24_e32 v4, 0xcc, v4
	s_delay_alu instid0(VALU_DEP_3) | instskip(SKIP_2) | instid1(VALU_DEP_3)
	v_dual_add_f32 v58, v58, v48 :: v_dual_mul_f32 v69, 0x3f3d2fb0, v62
	v_mul_f32_e32 v72, 0xbf7ba420, v62
	v_add_f32_e32 v74, v12, v74
	v_dual_add_f32 v77, v12, v77 :: v_dual_add_f32 v58, v58, v43
	v_fmac_f32_e32 v59, 0xbeb8f4ab, v60
	v_fmamk_f32 v80, v60, 0x3f06c442, v68
	v_add3_u32 v4, 0, v4, v8
	s_delay_alu instid0(VALU_DEP_4) | instskip(SKIP_3) | instid1(VALU_DEP_4)
	v_dual_add_f32 v65, v12, v65 :: v_dual_add_f32 v58, v58, v30
	v_mul_f32_e32 v71, 0xbf1a4643, v62
	v_dual_mul_f32 v64, 0x3ee437d1, v61 :: v_dual_add_f32 v59, v12, v59
	v_add_f32_e32 v80, v12, v80
	v_dual_add_f32 v58, v58, v27 :: v_dual_fmamk_f32 v75, v60, 0x3f2c7751, v63
	v_sub_f32_e32 v54, v54, v56
	v_sub_f32_e32 v50, v50, v52
	;; [unrolled: 1-line block ×3, first 2 shown]
	s_delay_alu instid0(VALU_DEP_4) | instskip(SKIP_1) | instid1(VALU_DEP_2)
	v_dual_add_f32 v58, v58, v29 :: v_dual_fmac_f32 v63, 0xbf2c7751, v60
	v_dual_mul_f32 v66, 0xbe8c1d8e, v61 :: v_dual_add_f32 v75, v12, v75
	v_dual_mul_f32 v61, 0xbf7ba420, v61 :: v_dual_add_f32 v58, v58, v34
	v_fmamk_f32 v79, v60, 0x3f4c4adb, v67
	s_delay_alu instid0(VALU_DEP_4) | instskip(SKIP_1) | instid1(VALU_DEP_4)
	v_add_f32_e32 v63, v12, v63
	v_fmamk_f32 v76, v60, 0x3f65296c, v64
	v_dual_fmamk_f32 v83, v57, 0x3f4c4adb, v71 :: v_dual_add_f32 v58, v58, v41
	v_fmamk_f32 v81, v60, 0x3e3c28d5, v61
	v_fmac_f32_e32 v64, 0xbf65296c, v60
	v_fmac_f32_e32 v67, 0xbf4c4adb, v60
	v_dual_fmac_f32 v68, 0xbf06c442, v60 :: v_dual_add_f32 v79, v12, v79
	v_dual_add_f32 v58, v58, v42 :: v_dual_fmac_f32 v71, 0xbf4c4adb, v57
	v_add_f32_e32 v76, v12, v76
	v_fmamk_f32 v78, v60, 0x3f763a35, v66
	v_fmac_f32_e32 v66, 0xbf763a35, v60
	s_delay_alu instid0(VALU_DEP_4) | instskip(SKIP_2) | instid1(VALU_DEP_3)
	v_dual_add_f32 v58, v58, v46 :: v_dual_fmac_f32 v61, 0xbe3c28d5, v60
	v_dual_fmamk_f32 v60, v57, 0x3f2c7751, v69 :: v_dual_add_f32 v67, v12, v67
	v_dual_fmac_f32 v69, 0xbf2c7751, v57 :: v_dual_add_f32 v64, v12, v64
	v_dual_add_f32 v58, v58, v47 :: v_dual_add_f32 v81, v12, v81
	v_add_f32_e32 v78, v12, v78
	v_add_f32_e32 v66, v12, v66
	;; [unrolled: 1-line block ×8, first 2 shown]
	v_mul_f32_e32 v69, 0xbe8c1d8e, v62
	v_dual_fmamk_f32 v70, v57, 0xbf06c442, v73 :: v_dual_add_f32 v47, v55, v47
	v_add_f32_e32 v60, v60, v74
	s_delay_alu instid0(VALU_DEP_3) | instskip(SKIP_1) | instid1(VALU_DEP_4)
	v_dual_add_f32 v64, v71, v64 :: v_dual_fmamk_f32 v71, v57, 0xbf763a35, v69
	v_dual_add_f32 v12, v12, v49 :: v_dual_fmamk_f32 v49, v57, 0x3e3c28d5, v72
	v_dual_add_f32 v70, v70, v78 :: v_dual_fmac_f32 v69, 0x3f763a35, v57
	v_dual_fmac_f32 v72, 0xbe3c28d5, v57 :: v_dual_add_f32 v63, v83, v76
	s_delay_alu instid0(VALU_DEP_3) | instskip(NEXT) | instid1(VALU_DEP_3)
	v_dual_add_f32 v49, v49, v77 :: v_dual_mul_f32 v56, 0x3ee437d1, v47
	v_add_f32_e32 v67, v69, v67
	s_delay_alu instid0(VALU_DEP_3) | instskip(SKIP_4) | instid1(VALU_DEP_4)
	v_dual_add_f32 v65, v72, v65 :: v_dual_mul_f32 v72, 0x3ee437d1, v62
	v_mul_f32_e32 v62, 0x3f6eb680, v62
	v_fmac_f32_e32 v73, 0x3f06c442, v57
	v_add_f32_e32 v71, v71, v79
	v_add_f32_e32 v46, v51, v46
	v_dual_add_f32 v42, v48, v42 :: v_dual_fmamk_f32 v69, v57, 0xbeb8f4ab, v62
	v_fmac_f32_e32 v62, 0x3eb8f4ab, v57
	s_delay_alu instid0(VALU_DEP_3) | instskip(SKIP_1) | instid1(VALU_DEP_3)
	v_dual_add_f32 v41, v43, v41 :: v_dual_mul_f32 v52, 0x3dbcf732, v46
	v_dual_sub_f32 v37, v37, v40 :: v_dual_add_f32 v30, v30, v34
	v_add_f32_e32 v61, v62, v61
	v_fmamk_f32 v55, v57, 0xbf65296c, v72
	v_fmac_f32_e32 v72, 0x3f65296c, v57
	v_add_f32_e32 v66, v73, v66
	v_dual_sub_f32 v32, v33, v32 :: v_dual_mul_f32 v33, 0xbf59a7d5, v30
	s_delay_alu instid0(VALU_DEP_4) | instskip(NEXT) | instid1(VALU_DEP_4)
	v_add_f32_e32 v55, v55, v80
	v_dual_add_f32 v57, v72, v68 :: v_dual_add_f32 v68, v69, v81
	v_fmamk_f32 v69, v54, 0x3f65296c, v56
	v_fmac_f32_e32 v56, 0xbf65296c, v54
	v_mul_f32_e32 v72, 0xbf1a4643, v47
	v_dual_mul_f32 v62, 0xbf7ba420, v47 :: v_dual_add_f32 v27, v27, v29
	s_delay_alu instid0(VALU_DEP_3) | instskip(NEXT) | instid1(VALU_DEP_3)
	v_dual_sub_f32 v10, v10, v28 :: v_dual_add_f32 v53, v56, v53
	v_dual_add_f32 v60, v69, v60 :: v_dual_fmamk_f32 v69, v54, 0x3f4c4adb, v72
	s_delay_alu instid0(VALU_DEP_3) | instskip(SKIP_2) | instid1(VALU_DEP_4)
	v_fmamk_f32 v56, v54, 0xbe3c28d5, v62
	v_mul_f32_e32 v73, 0xbe8c1d8e, v47
	v_mul_f32_e32 v28, 0xbf7ba420, v27
	v_add_f32_e32 v58, v69, v58
	s_delay_alu instid0(VALU_DEP_3) | instskip(SKIP_2) | instid1(VALU_DEP_3)
	v_dual_add_f32 v56, v56, v63 :: v_dual_fmamk_f32 v63, v54, 0xbf763a35, v73
	v_mul_f32_e32 v69, 0x3f3d2fb0, v47
	v_fmac_f32_e32 v73, 0x3f763a35, v54
	v_add_f32_e32 v49, v63, v49
	s_delay_alu instid0(VALU_DEP_3) | instskip(NEXT) | instid1(VALU_DEP_3)
	v_fmamk_f32 v63, v54, 0xbf2c7751, v69
	v_add_f32_e32 v65, v73, v65
	v_mul_f32_e32 v73, 0x3dbcf732, v47
	s_delay_alu instid0(VALU_DEP_1) | instskip(SKIP_1) | instid1(VALU_DEP_2)
	v_dual_add_f32 v63, v63, v70 :: v_dual_fmamk_f32 v70, v54, 0x3f7ee86f, v73
	v_fmac_f32_e32 v73, 0xbf7ee86f, v54
	v_dual_fmac_f32 v72, 0xbf4c4adb, v54 :: v_dual_add_f32 v51, v70, v55
	s_delay_alu instid0(VALU_DEP_2) | instskip(NEXT) | instid1(VALU_DEP_1)
	v_dual_add_f32 v57, v73, v57 :: v_dual_fmac_f32 v62, 0x3e3c28d5, v54
	v_dual_add_f32 v59, v72, v59 :: v_dual_add_f32 v62, v62, v64
	v_mul_f32_e32 v64, 0x3f6eb680, v47
	v_fmac_f32_e32 v69, 0x3f2c7751, v54
	v_mul_f32_e32 v47, 0xbf59a7d5, v47
	s_delay_alu instid0(VALU_DEP_3) | instskip(SKIP_1) | instid1(VALU_DEP_4)
	v_fmamk_f32 v72, v54, 0x3eb8f4ab, v64
	v_fmac_f32_e32 v64, 0xbeb8f4ab, v54
	v_add_f32_e32 v66, v69, v66
	s_delay_alu instid0(VALU_DEP_2) | instskip(SKIP_2) | instid1(VALU_DEP_2)
	v_dual_add_f32 v64, v64, v67 :: v_dual_fmamk_f32 v67, v50, 0x3f7ee86f, v52
	v_fmac_f32_e32 v52, 0xbf7ee86f, v50
	v_fmamk_f32 v55, v54, 0x3f06c442, v47
	v_dual_fmac_f32 v47, 0xbf06c442, v54 :: v_dual_add_f32 v52, v52, v53
	s_delay_alu instid0(VALU_DEP_2) | instskip(NEXT) | instid1(VALU_DEP_2)
	v_add_f32_e32 v54, v55, v68
	v_add_f32_e32 v47, v47, v61
	v_mul_f32_e32 v61, 0xbe8c1d8e, v46
	v_mul_f32_e32 v55, 0xbf7ba420, v46
	s_delay_alu instid0(VALU_DEP_2) | instskip(NEXT) | instid1(VALU_DEP_1)
	v_fmamk_f32 v53, v50, 0xbf763a35, v61
	v_dual_fmamk_f32 v68, v50, 0x3e3c28d5, v55 :: v_dual_add_f32 v53, v53, v56
	v_mul_f32_e32 v56, 0x3ee437d1, v46
	s_delay_alu instid0(VALU_DEP_2) | instskip(SKIP_1) | instid1(VALU_DEP_3)
	v_add_f32_e32 v58, v68, v58
	v_dual_add_f32 v60, v67, v60 :: v_dual_mul_f32 v67, 0x3f6eb680, v46
	v_fmamk_f32 v68, v50, 0x3f65296c, v56
	s_delay_alu instid0(VALU_DEP_1) | instskip(NEXT) | instid1(VALU_DEP_1)
	v_dual_add_f32 v63, v68, v63 :: v_dual_fmac_f32 v56, 0xbf65296c, v50
	v_add_f32_e32 v56, v56, v66
	v_mul_f32_e32 v66, 0xbf1a4643, v46
	v_mul_f32_e32 v45, 0xbe8c1d8e, v42
	s_delay_alu instid0(VALU_DEP_2) | instskip(SKIP_1) | instid1(VALU_DEP_2)
	v_fmamk_f32 v48, v50, 0xbf4c4adb, v66
	v_fmac_f32_e32 v66, 0x3f4c4adb, v50
	v_dual_fmac_f32 v55, 0xbe3c28d5, v50 :: v_dual_add_f32 v48, v48, v51
	v_fmac_f32_e32 v61, 0x3f763a35, v50
	s_delay_alu instid0(VALU_DEP_2) | instskip(SKIP_4) | instid1(VALU_DEP_3)
	v_add_f32_e32 v55, v55, v59
	v_add_f32_e32 v69, v72, v71
	v_fmamk_f32 v59, v50, 0xbeb8f4ab, v67
	v_fmac_f32_e32 v67, 0x3eb8f4ab, v50
	v_add_f32_e32 v61, v61, v62
	v_dual_mul_f32 v62, 0xbf59a7d5, v46 :: v_dual_add_f32 v49, v59, v49
	s_delay_alu instid0(VALU_DEP_3) | instskip(NEXT) | instid1(VALU_DEP_2)
	v_dual_add_f32 v59, v67, v65 :: v_dual_mul_f32 v46, 0x3f3d2fb0, v46
	v_fmamk_f32 v65, v50, 0x3f06c442, v62
	s_delay_alu instid0(VALU_DEP_1) | instskip(NEXT) | instid1(VALU_DEP_1)
	v_dual_add_f32 v65, v65, v69 :: v_dual_fmac_f32 v62, 0xbf06c442, v50
	v_add_f32_e32 v62, v62, v64
	s_delay_alu instid0(VALU_DEP_4) | instskip(SKIP_1) | instid1(VALU_DEP_2)
	v_fmamk_f32 v64, v50, 0xbf2c7751, v46
	v_fmac_f32_e32 v46, 0x3f2c7751, v50
	v_dual_add_f32 v50, v66, v57 :: v_dual_add_f32 v51, v64, v54
	v_fmamk_f32 v54, v44, 0x3f763a35, v45
	s_delay_alu instid0(VALU_DEP_3) | instskip(NEXT) | instid1(VALU_DEP_2)
	v_dual_fmac_f32 v45, 0xbf763a35, v44 :: v_dual_add_f32 v46, v46, v47
	v_dual_mul_f32 v57, 0xbf59a7d5, v42 :: v_dual_add_f32 v54, v54, v60
	s_delay_alu instid0(VALU_DEP_2) | instskip(SKIP_1) | instid1(VALU_DEP_3)
	v_add_f32_e32 v45, v45, v52
	v_mul_f32_e32 v47, 0x3f3d2fb0, v42
	v_fmamk_f32 v60, v44, 0xbf06c442, v57
	s_delay_alu instid0(VALU_DEP_2) | instskip(NEXT) | instid1(VALU_DEP_2)
	v_fmamk_f32 v52, v44, 0xbf2c7751, v47
	v_dual_add_f32 v58, v60, v58 :: v_dual_fmac_f32 v47, 0x3f2c7751, v44
	s_delay_alu instid0(VALU_DEP_2) | instskip(NEXT) | instid1(VALU_DEP_2)
	v_add_f32_e32 v52, v52, v53
	v_dual_mul_f32 v64, 0x3ee437d1, v42 :: v_dual_add_f32 v47, v47, v61
	s_delay_alu instid0(VALU_DEP_1) | instskip(NEXT) | instid1(VALU_DEP_1)
	v_fmamk_f32 v53, v44, 0x3f65296c, v64
	v_dual_fmac_f32 v64, 0xbf65296c, v44 :: v_dual_add_f32 v49, v53, v49
	s_delay_alu instid0(VALU_DEP_1) | instskip(SKIP_1) | instid1(VALU_DEP_2)
	v_dual_mul_f32 v60, 0x3dbcf732, v42 :: v_dual_add_f32 v59, v64, v59
	v_mul_f32_e32 v64, 0x3f6eb680, v42
	v_fmamk_f32 v61, v44, 0xbf7ee86f, v60
	v_fmac_f32_e32 v60, 0x3f7ee86f, v44
	s_delay_alu instid0(VALU_DEP_1) | instskip(NEXT) | instid1(VALU_DEP_1)
	v_dual_fmac_f32 v57, 0x3f06c442, v44 :: v_dual_add_f32 v60, v60, v62
	v_add_f32_e32 v55, v57, v55
	v_mul_f32_e32 v57, 0xbf7ba420, v42
	s_delay_alu instid0(VALU_DEP_1) | instskip(SKIP_1) | instid1(VALU_DEP_1)
	v_fmamk_f32 v53, v44, 0x3e3c28d5, v57
	v_fmac_f32_e32 v57, 0xbe3c28d5, v44
	v_add_f32_e32 v56, v57, v56
	v_add_f32_e32 v57, v61, v65
	v_fmamk_f32 v61, v44, 0x3eb8f4ab, v64
	v_mul_f32_e32 v42, 0xbf1a4643, v42
	v_fmac_f32_e32 v64, 0xbeb8f4ab, v44
	s_delay_alu instid0(VALU_DEP_2) | instskip(SKIP_1) | instid1(VALU_DEP_3)
	v_dual_add_f32 v43, v61, v48 :: v_dual_fmamk_f32 v48, v44, 0x3f4c4adb, v42
	v_fmac_f32_e32 v42, 0xbf4c4adb, v44
	v_add_f32_e32 v50, v64, v50
	s_delay_alu instid0(VALU_DEP_3) | instskip(SKIP_1) | instid1(VALU_DEP_4)
	v_add_f32_e32 v44, v48, v51
	v_mul_f32_e32 v40, 0xbf1a4643, v41
	v_add_f32_e32 v42, v42, v46
	v_mul_f32_e32 v48, 0xbe8c1d8e, v41
	s_delay_alu instid0(VALU_DEP_3) | instskip(SKIP_1) | instid1(VALU_DEP_3)
	v_fmamk_f32 v51, v37, 0x3f4c4adb, v40
	v_fmac_f32_e32 v40, 0xbf4c4adb, v37
	v_fmamk_f32 v61, v37, 0xbf763a35, v48
	s_delay_alu instid0(VALU_DEP_3) | instskip(NEXT) | instid1(VALU_DEP_3)
	v_dual_fmac_f32 v48, 0x3f763a35, v37 :: v_dual_add_f32 v51, v51, v54
	v_add_f32_e32 v40, v40, v45
	v_mul_f32_e32 v46, 0x3f6eb680, v41
	s_delay_alu instid0(VALU_DEP_4)
	v_add_f32_e32 v54, v61, v58
	v_mul_f32_e32 v58, 0xbf59a7d5, v41
	v_add_f32_e32 v48, v48, v55
	v_add_f32_e32 v53, v53, v63
	v_fmamk_f32 v45, v37, 0x3eb8f4ab, v46
	v_fmac_f32_e32 v46, 0xbeb8f4ab, v37
	v_fmamk_f32 v55, v37, 0x3f06c442, v58
	s_delay_alu instid0(VALU_DEP_3) | instskip(SKIP_1) | instid1(VALU_DEP_4)
	v_dual_fmac_f32 v58, 0xbf06c442, v37 :: v_dual_add_f32 v45, v45, v52
	v_mul_f32_e32 v52, 0x3dbcf732, v41
	v_dual_add_f32 v46, v46, v47 :: v_dual_mul_f32 v47, 0x3f3d2fb0, v41
	s_delay_alu instid0(VALU_DEP_4) | instskip(NEXT) | instid1(VALU_DEP_4)
	v_add_f32_e32 v49, v55, v49
	v_add_f32_e32 v55, v58, v59
	s_delay_alu instid0(VALU_DEP_4) | instskip(SKIP_2) | instid1(VALU_DEP_2)
	v_fmamk_f32 v61, v37, 0xbf7ee86f, v52
	v_fmac_f32_e32 v52, 0x3f7ee86f, v37
	v_fmamk_f32 v58, v37, 0x3f2c7751, v47
	v_add_f32_e32 v52, v52, v56
	v_mul_f32_e32 v56, 0xbf7ba420, v41
	v_mul_f32_e32 v41, 0x3ee437d1, v41
	s_delay_alu instid0(VALU_DEP_2) | instskip(NEXT) | instid1(VALU_DEP_2)
	v_dual_add_f32 v57, v58, v57 :: v_dual_fmamk_f32 v34, v37, 0x3e3c28d5, v56
	v_fmamk_f32 v58, v37, 0xbf65296c, v41
	v_fmac_f32_e32 v41, 0x3f65296c, v37
	v_fmac_f32_e32 v56, 0xbe3c28d5, v37
	s_delay_alu instid0(VALU_DEP_4) | instskip(NEXT) | instid1(VALU_DEP_4)
	v_add_f32_e32 v34, v34, v43
	v_dual_add_f32 v43, v58, v44 :: v_dual_fmamk_f32 v44, v32, 0x3f06c442, v33
	s_delay_alu instid0(VALU_DEP_4) | instskip(SKIP_2) | instid1(VALU_DEP_2)
	v_add_f32_e32 v41, v41, v42
	v_fmac_f32_e32 v33, 0xbf06c442, v32
	v_mul_f32_e32 v42, 0x3dbcf732, v30
	v_dual_add_f32 v44, v44, v51 :: v_dual_add_f32 v33, v33, v40
	s_delay_alu instid0(VALU_DEP_2)
	v_fmamk_f32 v40, v32, 0x3f7ee86f, v42
	v_fmac_f32_e32 v42, 0xbf7ee86f, v32
	v_fmac_f32_e32 v47, 0xbf2c7751, v37
	v_add_f32_e32 v37, v56, v50
	v_mul_f32_e32 v50, 0x3ee437d1, v30
	v_mul_f32_e32 v56, 0xbf1a4643, v30
	v_add_f32_e32 v40, v40, v45
	v_add_f32_e32 v42, v42, v46
	v_mul_f32_e32 v46, 0xbf7ba420, v30
	v_fmamk_f32 v51, v32, 0xbf65296c, v50
	v_fmac_f32_e32 v50, 0x3f65296c, v32
	v_fmamk_f32 v45, v32, 0xbf4c4adb, v56
	v_fmac_f32_e32 v56, 0x3f4c4adb, v32
	v_add_f32_e32 v47, v47, v60
	s_delay_alu instid0(VALU_DEP_4) | instskip(SKIP_1) | instid1(VALU_DEP_4)
	v_dual_add_f32 v51, v51, v54 :: v_dual_add_f32 v48, v50, v48
	v_mul_f32_e32 v50, 0x3f6eb680, v30
	v_add_f32_e32 v54, v56, v55
	v_fmamk_f32 v55, v32, 0x3e3c28d5, v46
	v_dual_fmac_f32 v46, 0xbe3c28d5, v32 :: v_dual_add_f32 v53, v61, v53
	v_dual_add_f32 v45, v45, v49 :: v_dual_mul_f32 v56, 0x3f3d2fb0, v30
	v_mul_f32_e32 v30, 0xbe8c1d8e, v30
	s_delay_alu instid0(VALU_DEP_3) | instskip(SKIP_1) | instid1(VALU_DEP_1)
	v_dual_add_f32 v46, v46, v47 :: v_dual_fmamk_f32 v49, v32, 0x3eb8f4ab, v50
	v_fmac_f32_e32 v50, 0xbeb8f4ab, v32
	v_add_f32_e32 v50, v50, v52
	v_add_f32_e32 v52, v55, v57
	s_delay_alu instid0(VALU_DEP_4) | instskip(SKIP_1) | instid1(VALU_DEP_1)
	v_add_f32_e32 v49, v49, v53
	v_fmamk_f32 v53, v32, 0xbf2c7751, v56
	v_dual_add_f32 v29, v53, v34 :: v_dual_fmamk_f32 v34, v32, 0x3f763a35, v30
	v_fmac_f32_e32 v30, 0xbf763a35, v32
	s_delay_alu instid0(VALU_DEP_1) | instskip(SKIP_1) | instid1(VALU_DEP_4)
	v_dual_add_f32 v30, v30, v41 :: v_dual_mul_f32 v41, 0xbf59a7d5, v27
	v_fmac_f32_e32 v56, 0x3f2c7751, v32
	v_add_f32_e32 v32, v34, v43
	v_mul_f32_e32 v34, 0x3f6eb680, v27
	v_fmamk_f32 v43, v10, 0x3e3c28d5, v28
	v_fmac_f32_e32 v28, 0xbe3c28d5, v10
	s_delay_alu instid0(VALU_DEP_3) | instskip(NEXT) | instid1(VALU_DEP_2)
	v_fmamk_f32 v47, v10, 0xbeb8f4ab, v34
	v_dual_add_f32 v43, v43, v44 :: v_dual_add_f32 v28, v28, v33
	v_fmamk_f32 v33, v10, 0x3f06c442, v41
	v_fmac_f32_e32 v34, 0x3eb8f4ab, v10
	v_fmac_f32_e32 v41, 0xbf06c442, v10
	s_delay_alu instid0(VALU_DEP_3) | instskip(SKIP_1) | instid1(VALU_DEP_4)
	v_dual_add_f32 v33, v33, v40 :: v_dual_mul_f32 v40, 0xbf1a4643, v27
	v_add_f32_e32 v44, v47, v51
	v_dual_mul_f32 v47, 0x3f3d2fb0, v27 :: v_dual_add_f32 v34, v34, v48
	s_delay_alu instid0(VALU_DEP_4) | instskip(NEXT) | instid1(VALU_DEP_4)
	v_dual_add_f32 v41, v41, v42 :: v_dual_mul_f32 v42, 0x3ee437d1, v27
	v_fmamk_f32 v51, v10, 0x3f4c4adb, v40
	s_delay_alu instid0(VALU_DEP_3)
	v_fmamk_f32 v48, v10, 0xbf2c7751, v47
	v_fmac_f32_e32 v40, 0xbf4c4adb, v10
	v_fmac_f32_e32 v47, 0x3f2c7751, v10
	v_add_f32_e32 v37, v56, v37
	v_add_f32_e32 v49, v51, v49
	v_dual_add_f32 v45, v48, v45 :: v_dual_fmamk_f32 v48, v10, 0xbf65296c, v42
	v_fmac_f32_e32 v42, 0x3f65296c, v10
	v_add_f32_e32 v40, v40, v50
	v_mul_f32_e32 v50, 0xbe8c1d8e, v27
	s_delay_alu instid0(VALU_DEP_4) | instskip(NEXT) | instid1(VALU_DEP_4)
	v_dual_mul_f32 v27, 0x3dbcf732, v27 :: v_dual_add_f32 v48, v48, v52
	v_add_f32_e32 v42, v42, v46
	s_delay_alu instid0(VALU_DEP_3) | instskip(NEXT) | instid1(VALU_DEP_3)
	v_dual_add_f32 v47, v47, v54 :: v_dual_fmamk_f32 v46, v10, 0x3f763a35, v50
	v_fmamk_f32 v51, v10, 0xbf7ee86f, v27
	v_fmac_f32_e32 v27, 0x3f7ee86f, v10
	v_fmac_f32_e32 v50, 0xbf763a35, v10
	s_delay_alu instid0(VALU_DEP_3) | instskip(NEXT) | instid1(VALU_DEP_2)
	v_dual_add_f32 v8, v46, v29 :: v_dual_add_f32 v29, v51, v32
	v_dual_add_f32 v27, v27, v30 :: v_dual_add_f32 v10, v50, v37
	ds_store_2addr_b32 v4, v12, v43 offset1:3
	ds_store_2addr_b32 v4, v44, v33 offset0:6 offset1:9
	ds_store_2addr_b32 v4, v45, v49 offset0:12 offset1:15
	;; [unrolled: 1-line block ×7, first 2 shown]
	ds_store_b32 v4, v28 offset:192
.LBB0_27:
	s_wait_alu 0xfffe
	s_or_b32 exec_lo, exec_lo, s1
	v_mul_u32_u24_e32 v4, 6, v3
	global_wb scope:SCOPE_SE
	s_wait_dscnt 0x0
	s_barrier_signal -1
	s_barrier_wait -1
	global_inv scope:SCOPE_SE
	v_lshlrev_b32_e32 v4, 3, v4
	v_lshl_add_u32 v27, v11, 2, 0
	s_clause 0x2
	global_load_b128 v[40:43], v4, s[8:9] offset:384
	global_load_b128 v[44:47], v4, s[8:9] offset:400
	;; [unrolled: 1-line block ×3, first 2 shown]
	ds_load_b32 v4, v26
	ds_load_2addr_b32 v[28:29], v0 offset0:204 offset1:255
	ds_load_2addr_b32 v[32:33], v31 offset0:50 offset1:101
	;; [unrolled: 1-line block ×5, first 2 shown]
	ds_load_2addr_b32 v[58:59], v0 offset1:153
	ds_load_b32 v8, v25
	v_add_nc_u32_e32 v30, 0x200, v0
	global_wb scope:SCOPE_SE
	s_wait_loadcnt_dscnt 0x0
	s_barrier_signal -1
	s_barrier_wait -1
	global_inv scope:SCOPE_SE
	v_dual_mul_f32 v10, v4, v41 :: v_dual_mul_f32 v63, v23, v47
	v_dual_mul_f32 v12, v39, v41 :: v_dual_mul_f32 v67, v17, v51
	;; [unrolled: 1-line block ×4, first 2 shown]
	v_mul_f32_e32 v69, v29, v43
	v_mul_f32_e32 v61, v19, v45
	v_dual_mul_f32 v64, v54, v49 :: v_dual_mul_f32 v43, v16, v43
	v_mul_f32_e32 v66, v56, v51
	v_mul_f32_e32 v62, v52, v47
	v_dual_mul_f32 v68, v59, v41 :: v_dual_mul_f32 v71, v53, v47
	v_mul_f32_e32 v41, v14, v41
	v_dual_mul_f32 v70, v33, v45 :: v_dual_mul_f32 v47, v24, v47
	v_dual_mul_f32 v45, v20, v45 :: v_dual_fmac_f32 v10, v39, v40
	v_dual_mul_f32 v72, v55, v49 :: v_dual_mul_f32 v73, v57, v51
	v_mul_f32_e32 v49, v22, v49
	v_dual_mul_f32 v51, v18, v51 :: v_dual_fmac_f32 v34, v15, v42
	v_fma_f32 v4, v4, v40, -v12
	v_fma_f32 v12, v28, v42, -v37
	v_dual_fmac_f32 v60, v19, v44 :: v_dual_fmac_f32 v69, v16, v42
	v_fma_f32 v15, v32, v44, -v61
	v_fma_f32 v19, v52, v46, -v63
	v_dual_fmac_f32 v64, v21, v48 :: v_dual_fmac_f32 v71, v24, v46
	v_fma_f32 v21, v54, v48, -v65
	v_fmac_f32_e32 v66, v17, v50
	v_fma_f32 v17, v56, v50, -v67
	v_fmac_f32_e32 v62, v23, v46
	v_fma_f32 v16, v29, v42, -v43
	v_dual_fmac_f32 v70, v20, v44 :: v_dual_fmac_f32 v73, v18, v50
	v_fma_f32 v20, v33, v44, -v45
	v_fma_f32 v23, v53, v46, -v47
	v_dual_fmac_f32 v72, v22, v48 :: v_dual_add_f32 v33, v15, v19
	v_fma_f32 v22, v55, v48, -v49
	v_fma_f32 v18, v57, v50, -v51
	v_add_f32_e32 v28, v4, v17
	v_dual_sub_f32 v4, v4, v17 :: v_dual_add_f32 v17, v34, v64
	v_fmac_f32_e32 v68, v14, v40
	v_fma_f32 v14, v59, v40, -v41
	v_dual_add_f32 v29, v12, v21 :: v_dual_add_f32 v24, v10, v66
	v_dual_sub_f32 v15, v19, v15 :: v_dual_sub_f32 v12, v12, v21
	v_sub_f32_e32 v43, v71, v70
	v_add_f32_e32 v21, v60, v62
	v_dual_sub_f32 v10, v10, v66 :: v_dual_add_f32 v19, v68, v73
	v_dual_sub_f32 v32, v34, v64 :: v_dual_sub_f32 v39, v68, v73
	v_sub_f32_e32 v34, v62, v60
	v_add_f32_e32 v37, v14, v18
	v_sub_f32_e32 v14, v14, v18
	v_dual_add_f32 v40, v16, v22 :: v_dual_sub_f32 v45, v17, v24
	v_sub_f32_e32 v41, v69, v72
	v_add_f32_e32 v18, v69, v72
	v_add_f32_e32 v42, v20, v23
	;; [unrolled: 1-line block ×3, first 2 shown]
	v_dual_sub_f32 v50, v15, v12 :: v_dual_sub_f32 v15, v4, v15
	s_delay_alu instid0(VALU_DEP_4)
	v_dual_sub_f32 v20, v23, v20 :: v_dual_add_f32 v51, v18, v19
	v_add_f32_e32 v23, v17, v24
	v_dual_add_f32 v44, v29, v28 :: v_dual_sub_f32 v53, v18, v19
	v_dual_sub_f32 v16, v16, v22 :: v_dual_sub_f32 v17, v21, v17
	v_dual_sub_f32 v24, v24, v21 :: v_dual_sub_f32 v49, v34, v32
	v_add_f32_e32 v47, v34, v32
	v_dual_sub_f32 v34, v10, v34 :: v_dual_add_f32 v55, v43, v41
	v_dual_sub_f32 v32, v32, v10 :: v_dual_sub_f32 v57, v43, v41
	v_dual_add_f32 v52, v40, v37 :: v_dual_add_f32 v21, v21, v23
	v_dual_add_f32 v23, v33, v44 :: v_dual_add_f32 v22, v70, v71
	v_sub_f32_e32 v12, v12, v4
	v_dual_sub_f32 v54, v40, v37 :: v_dual_sub_f32 v37, v37, v42
	s_delay_alu instid0(VALU_DEP_3)
	v_dual_sub_f32 v46, v29, v28 :: v_dual_sub_f32 v19, v19, v22
	v_dual_sub_f32 v28, v28, v33 :: v_dual_sub_f32 v43, v39, v43
	;; [unrolled: 1-line block ×3, first 2 shown]
	v_dual_add_f32 v56, v20, v16 :: v_dual_sub_f32 v41, v41, v39
	v_add_f32_e32 v39, v55, v39
	v_dual_add_f32 v10, v47, v10 :: v_dual_mul_f32 v55, 0x3f08b237, v57
	v_dual_mul_f32 v24, 0x3f4a47b2, v24 :: v_dual_add_f32 v13, v13, v21
	v_mul_f32_e32 v33, 0x3d64c772, v17
	v_mul_f32_e32 v47, 0x3f08b237, v49
	v_dual_mul_f32 v49, 0xbf5ff5aa, v32 :: v_dual_add_f32 v58, v58, v23
	v_dual_sub_f32 v18, v22, v18 :: v_dual_sub_f32 v59, v20, v16
	v_dual_sub_f32 v20, v14, v20 :: v_dual_mul_f32 v19, 0x3f4a47b2, v19
	v_dual_sub_f32 v16, v16, v14 :: v_dual_mul_f32 v37, 0x3f4a47b2, v37
	v_dual_mul_f32 v44, 0x3d64c772, v29 :: v_dual_fmamk_f32 v17, v17, 0x3d64c772, v24
	v_add_f32_e32 v14, v56, v14
	v_fma_f32 v33, 0x3f3bfb3b, v45, -v33
	v_fma_f32 v24, 0xbf3bfb3b, v45, -v24
	v_fmamk_f32 v45, v34, 0xbeae86e6, v47
	v_fma_f32 v34, 0x3eae86e6, v34, -v49
	v_fmamk_f32 v49, v43, 0xbeae86e6, v55
	v_fmamk_f32 v23, v23, 0xbf955555, v58
	v_mul_f32_e32 v28, 0x3f4a47b2, v28
	v_add_f32_e32 v42, v42, v52
	v_dual_add_f32 v4, v48, v4 :: v_dual_mul_f32 v57, 0xbf5ff5aa, v41
	v_fma_f32 v44, 0x3f3bfb3b, v46, -v44
	v_mul_f32_e32 v48, 0x3f08b237, v50
	v_mul_f32_e32 v50, 0xbf5ff5aa, v12
	v_fmamk_f32 v29, v29, 0x3d64c772, v28
	v_fma_f32 v32, 0xbf5ff5aa, v32, -v47
	v_dual_add_f32 v8, v8, v42 :: v_dual_fmamk_f32 v21, v21, 0xbf955555, v13
	v_dual_add_f32 v22, v22, v51 :: v_dual_mul_f32 v51, 0x3d64c772, v18
	v_mul_f32_e32 v52, 0x3d64c772, v40
	v_fma_f32 v28, 0xbf3bfb3b, v46, -v28
	v_fmamk_f32 v46, v15, 0xbeae86e6, v48
	v_fmamk_f32 v40, v40, 0x3d64c772, v37
	v_fma_f32 v43, 0x3eae86e6, v43, -v57
	v_fmac_f32_e32 v45, 0xbee1c552, v10
	v_dual_fmac_f32 v32, 0xbee1c552, v10 :: v_dual_fmac_f32 v49, 0xbee1c552, v39
	s_delay_alu instid0(VALU_DEP_3)
	v_dual_fmac_f32 v34, 0xbee1c552, v10 :: v_dual_fmac_f32 v43, 0xbee1c552, v39
	v_fmamk_f32 v10, v42, 0xbf955555, v8
	v_mul_f32_e32 v56, 0x3f08b237, v59
	v_mul_f32_e32 v59, 0xbf5ff5aa, v16
	v_fma_f32 v15, 0x3eae86e6, v15, -v50
	v_add_f32_e32 v38, v38, v22
	v_fma_f32 v47, 0x3f3bfb3b, v53, -v51
	v_fmamk_f32 v50, v20, 0xbeae86e6, v56
	v_fma_f32 v16, 0xbf5ff5aa, v16, -v56
	v_fma_f32 v20, 0x3eae86e6, v20, -v59
	;; [unrolled: 1-line block ×3, first 2 shown]
	v_fmac_f32_e32 v15, 0xbee1c552, v4
	v_fma_f32 v37, 0xbf3bfb3b, v54, -v37
	v_fmac_f32_e32 v16, 0xbee1c552, v14
	v_fmac_f32_e32 v20, 0xbee1c552, v14
	;; [unrolled: 1-line block ×3, first 2 shown]
	v_add_f32_e32 v14, v17, v21
	v_add_f32_e32 v17, v29, v23
	;; [unrolled: 1-line block ×3, first 2 shown]
	v_fma_f32 v12, 0xbf5ff5aa, v12, -v48
	v_dual_add_f32 v23, v28, v23 :: v_dual_fmac_f32 v46, 0xbee1c552, v4
	s_delay_alu instid0(VALU_DEP_3) | instskip(NEXT) | instid1(VALU_DEP_3)
	v_dual_fmac_f32 v41, 0xbee1c552, v39 :: v_dual_add_f32 v44, v32, v29
	v_fmac_f32_e32 v12, 0xbee1c552, v4
	v_fmamk_f32 v4, v22, 0xbf955555, v38
	v_add_f32_e32 v22, v33, v21
	v_add_f32_e32 v21, v24, v21
	v_fma_f32 v48, 0x3f3bfb3b, v54, -v52
	v_fmamk_f32 v18, v18, 0x3d64c772, v19
	v_fma_f32 v19, 0xbf3bfb3b, v53, -v19
	v_sub_f32_e32 v32, v29, v32
	s_delay_alu instid0(VALU_DEP_4) | instskip(NEXT) | instid1(VALU_DEP_4)
	v_dual_add_f32 v28, v15, v21 :: v_dual_add_f32 v39, v48, v10
	v_dual_sub_f32 v15, v21, v15 :: v_dual_add_f32 v18, v18, v4
	v_add_f32_e32 v24, v47, v4
	v_dual_add_f32 v4, v19, v4 :: v_dual_add_f32 v19, v46, v14
	v_add_f32_e32 v33, v40, v10
	v_add_f32_e32 v10, v37, v10
	v_dual_sub_f32 v37, v17, v45 :: v_dual_sub_f32 v14, v14, v46
	v_add_f32_e32 v45, v45, v17
	s_delay_alu instid0(VALU_DEP_4)
	v_sub_f32_e32 v46, v33, v49
	v_add_f32_e32 v33, v49, v33
	v_add_f32_e32 v21, v20, v4
	;; [unrolled: 1-line block ×3, first 2 shown]
	v_sub_f32_e32 v42, v22, v12
	v_dual_add_f32 v12, v12, v22 :: v_dual_sub_f32 v47, v10, v43
	v_sub_f32_e32 v22, v24, v16
	v_add_f32_e32 v16, v16, v24
	v_sub_f32_e32 v18, v18, v50
	v_sub_f32_e32 v40, v23, v34
	v_add_f32_e32 v34, v34, v23
	v_sub_f32_e32 v4, v4, v20
	ds_store_2addr_b32 v0, v13, v19 offset1:51
	ds_store_2addr_b32 v0, v28, v42 offset0:102 offset1:153
	ds_store_2addr_b32 v0, v12, v15 offset0:204 offset1:255
	;; [unrolled: 1-line block ×6, first 2 shown]
	global_wb scope:SCOPE_SE
	s_wait_dscnt 0x0
	s_barrier_signal -1
	s_barrier_wait -1
	global_inv scope:SCOPE_SE
	ds_load_2addr_b32 v[13:14], v0 offset1:204
	ds_load_2addr_b32 v[15:16], v31 offset0:101 offset1:152
	ds_load_b32 v24, v27
	ds_load_b32 v29, v0 offset:2652
	ds_load_b32 v28, v25
	ds_load_b32 v23, v26
	ds_load_2addr_b32 v[19:20], v31 offset0:203 offset1:254
	ds_load_2addr_b32 v[21:22], v36 offset0:49 offset1:100
	;; [unrolled: 1-line block ×3, first 2 shown]
	v_add_f32_e32 v4, v41, v39
	v_sub_f32_e32 v12, v39, v41
	v_add_f32_e32 v10, v43, v10
	global_wb scope:SCOPE_SE
	s_wait_dscnt 0x0
	s_barrier_signal -1
	s_barrier_wait -1
	global_inv scope:SCOPE_SE
	ds_store_2addr_b32 v0, v58, v37 offset1:51
	ds_store_2addr_b32 v0, v40, v44 offset0:102 offset1:153
	ds_store_2addr_b32 v0, v32, v34 offset0:204 offset1:255
	;; [unrolled: 1-line block ×6, first 2 shown]
	global_wb scope:SCOPE_SE
	s_wait_dscnt 0x0
	s_barrier_signal -1
	s_barrier_wait -1
	global_inv scope:SCOPE_SE
	s_and_saveexec_b32 s0, vcc_lo
	s_cbranch_execz .LBB0_29
; %bb.28:
	v_add_nc_u32_e32 v44, 0x66, v3
	v_dual_mov_b32 v4, 0 :: v_dual_add_nc_u32 v77, 0x800, v0
	v_mul_lo_u32 v43, s3, v5
	v_mul_lo_u32 v6, s2, v6
	s_delay_alu instid0(VALU_DEP_4) | instskip(NEXT) | instid1(VALU_DEP_4)
	v_mul_hi_u32 v49, 0x16f26017, v44
	v_dual_mov_b32 v12, v4 :: v_dual_add_nc_u32 v45, 0x99, v3
	v_lshlrev_b64_e32 v[31:32], 3, v[3:4]
	v_dual_mov_b32 v10, v4 :: v_dual_add_nc_u32 v47, 0xff, v3
	s_delay_alu instid0(VALU_DEP_3)
	v_lshlrev_b64_e32 v[11:12], 3, v[11:12]
	v_add_nc_u32_e32 v80, 0x400, v0
	v_lshrrev_b32_e32 v49, 5, v49
	v_add_co_u32 v31, vcc_lo, s8, v31
	v_lshlrev_b64_e32 v[9:10], 3, v[9:10]
	s_wait_alu 0xfffd
	v_add_co_ci_u32_e32 v32, vcc_lo, s9, v32, vcc_lo
	v_mul_u32_u24_e32 v54, 0x165, v49
	v_add_co_u32 v11, vcc_lo, s8, v11
	s_wait_alu 0xfffd
	v_add_co_ci_u32_e32 v12, vcc_lo, s9, v12, vcc_lo
	s_delay_alu instid0(VALU_DEP_3) | instskip(SKIP_3) | instid1(VALU_DEP_3)
	v_sub_nc_u32_e32 v44, v44, v54
	v_add_co_u32 v9, vcc_lo, s8, v9
	s_wait_alu 0xfffd
	v_add_co_ci_u32_e32 v10, vcc_lo, s9, v10, vcc_lo
	v_mad_u32_u24 v67, 0x2ca, v49, v44
	v_mov_b32_e32 v8, v4
	s_clause 0x3
	global_load_b64 v[33:34], v[31:32], off offset:5280
	global_load_b64 v[35:36], v[31:32], off offset:4872
	global_load_b64 v[37:38], v[31:32], off offset:4464
	global_load_b64 v[31:32], v[31:32], off offset:2832
	v_mad_co_u64_u32 v[4:5], null, s2, v5, 0
	v_add_nc_u32_e32 v73, 0x165, v67
	v_lshlrev_b64_e32 v[7:8], 3, v[7:8]
	v_add_nc_u32_e32 v46, 0xcc, v3
	v_add_nc_u32_e32 v48, 0x132, v3
	v_mul_hi_u32 v50, 0x16f26017, v45
	v_add3_u32 v5, v5, v6, v43
	v_add_co_u32 v7, vcc_lo, s8, v7
	s_wait_alu 0xfffd
	v_add_co_ci_u32_e32 v8, vcc_lo, s9, v8, vcc_lo
	s_clause 0x2
	global_load_b64 v[11:12], v[11:12], off offset:2832
	global_load_b64 v[9:10], v[9:10], off offset:2832
	;; [unrolled: 1-line block ×3, first 2 shown]
	v_mul_hi_u32 v43, 0x16f26017, v47
	ds_load_2addr_b32 v[39:40], v30 offset0:127 offset1:178
	ds_load_b32 v81, v0 offset:2652
	ds_load_2addr_b32 v[41:42], v0 offset1:204
	v_lshlrev_b64_e32 v[0:1], 3, v[1:2]
	ds_load_b32 v82, v26
	v_mul_hi_u32 v26, 0x16f26017, v3
	v_mul_hi_u32 v6, 0x16f26017, v46
	;; [unrolled: 1-line block ×3, first 2 shown]
	v_lshrrev_b32_e32 v43, 5, v43
	v_lshrrev_b32_e32 v50, 5, v50
	v_lshlrev_b64_e32 v[4:5], 3, v[4:5]
	ds_load_b32 v85, v27
	ds_load_b32 v86, v25
	v_mul_u32_u24_e32 v57, 0x165, v43
	v_lshrrev_b32_e32 v26, 5, v26
	v_lshrrev_b32_e32 v6, 5, v6
	;; [unrolled: 1-line block ×3, first 2 shown]
	v_mul_u32_u24_e32 v55, 0x165, v50
	v_sub_nc_u32_e32 v47, v47, v57
	v_mul_u32_u24_e32 v26, 0x165, v26
	v_mul_u32_u24_e32 v56, 0x165, v6
	;; [unrolled: 1-line block ×3, first 2 shown]
	v_add_co_u32 v4, vcc_lo, s6, v4
	v_mad_u32_u24 v70, 0x2ca, v43, v47
	v_mad_co_u64_u32 v[43:44], null, s16, v67, 0
	v_add_nc_u32_e32 v30, 51, v3
	v_sub_nc_u32_e32 v26, v3, v26
	v_sub_nc_u32_e32 v45, v45, v55
	s_wait_alu 0xfffd
	v_add_co_ci_u32_e32 v5, vcc_lo, s7, v5, vcc_lo
	v_mul_hi_u32 v2, 0x16f26017, v30
	v_sub_nc_u32_e32 v46, v46, v56
	v_add_nc_u32_e32 v64, 0x165, v26
	v_sub_nc_u32_e32 v48, v48, v58
	v_add_co_u32 v83, vcc_lo, v4, v0
	v_mad_u32_u24 v68, 0x2ca, v50, v45
	s_wait_alu 0xfffd
	v_add_co_ci_u32_e32 v84, vcc_lo, v5, v1, vcc_lo
	v_lshrrev_b32_e32 v52, 5, v2
	v_mad_co_u64_u32 v[2:3], null, s16, v26, 0
	v_mad_u32_u24 v69, 0x2ca, v6, v46
	v_mad_co_u64_u32 v[0:1], null, s16, v64, 0
	s_delay_alu instid0(VALU_DEP_4) | instskip(SKIP_3) | instid1(VALU_DEP_4)
	v_mul_u32_u24_e32 v53, 0x165, v52
	v_mad_u32_u24 v71, 0x2ca, v51, v48
	v_mad_co_u64_u32 v[45:46], null, s16, v68, 0
	v_mad_co_u64_u32 v[47:48], null, s16, v69, 0
	v_sub_nc_u32_e32 v30, v30, v53
	v_mad_co_u64_u32 v[49:50], null, s16, v70, 0
	v_mad_co_u64_u32 v[56:57], null, s16, v73, 0
	s_delay_alu instid0(VALU_DEP_3) | instskip(SKIP_2) | instid1(VALU_DEP_3)
	v_mad_u32_u24 v66, 0x2ca, v52, v30
	v_mad_co_u64_u32 v[51:52], null, s16, v71, 0
	v_dual_mov_b32 v6, v46 :: v_dual_add_nc_u32 v79, 0x165, v71
	v_mad_co_u64_u32 v[4:5], null, s16, v66, 0
	v_add_nc_u32_e32 v72, 0x165, v66
	v_mad_co_u64_u32 v[64:65], null, s17, v64, v[1:2]
	v_mov_b32_e32 v30, v50
	v_add_nc_u32_e32 v74, 0x165, v68
	v_add_nc_u32_e32 v76, 0x165, v69
	v_mad_co_u64_u32 v[53:54], null, s17, v26, v[3:4]
	v_mad_co_u64_u32 v[54:55], null, s16, v72, 0
	v_mov_b32_e32 v1, v5
	v_dual_mov_b32 v5, v44 :: v_dual_mov_b32 v26, v48
	s_delay_alu instid0(VALU_DEP_4) | instskip(NEXT) | instid1(VALU_DEP_3)
	v_dual_mov_b32 v44, v52 :: v_dual_mov_b32 v3, v53
	v_mad_co_u64_u32 v[52:53], null, s17, v66, v[1:2]
	s_delay_alu instid0(VALU_DEP_3) | instskip(SKIP_3) | instid1(VALU_DEP_2)
	v_mad_co_u64_u32 v[65:66], null, s17, v67, v[5:6]
	v_dual_mov_b32 v5, v55 :: v_dual_add_nc_u32 v78, 0x165, v70
	v_mov_b32_e32 v1, v64
	v_lshlrev_b64_e32 v[2:3], 3, v[2:3]
	v_lshlrev_b64_e32 v[0:1], 3, v[0:1]
	s_delay_alu instid0(VALU_DEP_2) | instskip(SKIP_1) | instid1(VALU_DEP_3)
	v_add_co_u32 v2, vcc_lo, v83, v2
	s_wait_alu 0xfffd
	v_add_co_ci_u32_e32 v3, vcc_lo, v84, v3, vcc_lo
	s_delay_alu instid0(VALU_DEP_3)
	v_add_co_u32 v0, vcc_lo, v83, v0
	s_wait_alu 0xfffd
	v_add_co_ci_u32_e32 v1, vcc_lo, v84, v1, vcc_lo
	s_wait_loadcnt 0x0
	v_mad_co_u64_u32 v[66:67], null, s17, v68, v[6:7]
	v_mov_b32_e32 v6, v57
	v_mad_co_u64_u32 v[67:68], null, s17, v69, v[26:27]
	v_mad_co_u64_u32 v[68:69], null, s17, v70, v[30:31]
	;; [unrolled: 1-line block ×3, first 2 shown]
	s_delay_alu instid0(VALU_DEP_4)
	v_mad_co_u64_u32 v[70:71], null, s17, v72, v[5:6]
	v_mad_co_u64_u32 v[71:72], null, s17, v73, v[6:7]
	v_mov_b32_e32 v44, v65
	ds_load_2addr_b32 v[64:65], v80 offset0:203 offset1:254
	v_mad_co_u64_u32 v[72:73], null, s16, v79, 0
	v_mov_b32_e32 v55, v70
	v_mad_co_u64_u32 v[58:59], null, s16, v74, 0
	v_mov_b32_e32 v57, v71
	;; [unrolled: 2-line block ×3, first 2 shown]
	s_delay_alu instid0(VALU_DEP_4) | instskip(NEXT) | instid1(VALU_DEP_3)
	v_dual_mov_b32 v5, v52 :: v_dual_mov_b32 v26, v59
	v_mov_b32_e32 v30, v61
	s_delay_alu instid0(VALU_DEP_2) | instskip(NEXT) | instid1(VALU_DEP_3)
	v_lshlrev_b64_e32 v[4:5], 3, v[4:5]
	v_mad_co_u64_u32 v[74:75], null, s17, v74, v[26:27]
	s_delay_alu instid0(VALU_DEP_2) | instskip(SKIP_1) | instid1(VALU_DEP_3)
	v_add_co_u32 v4, vcc_lo, v83, v4
	s_wait_alu 0xfffd
	v_add_co_ci_u32_e32 v5, vcc_lo, v84, v5, vcc_lo
	s_delay_alu instid0(VALU_DEP_3) | instskip(SKIP_1) | instid1(VALU_DEP_1)
	v_mov_b32_e32 v59, v74
	v_mad_co_u64_u32 v[62:63], null, s16, v78, 0
	v_mov_b32_e32 v6, v63
	s_delay_alu instid0(VALU_DEP_1) | instskip(SKIP_3) | instid1(VALU_DEP_2)
	v_mad_co_u64_u32 v[26:27], null, s17, v78, v[6:7]
	v_mul_f32_e32 v6, v29, v34
	s_wait_dscnt 0x5
	v_mul_f32_e32 v27, v81, v34
	v_fma_f32 v6, v81, v33, -v6
	s_delay_alu instid0(VALU_DEP_2)
	v_fmac_f32_e32 v27, v29, v33
	v_mul_f32_e32 v33, v20, v12
	v_mad_co_u64_u32 v[75:76], null, s17, v76, v[30:31]
	ds_load_2addr_b32 v[76:77], v77 offset0:49 offset1:100
	v_mad_co_u64_u32 v[78:79], null, s17, v79, v[25:26]
	ds_load_2addr_b32 v[79:80], v80 offset0:101 offset1:152
	v_mul_f32_e32 v30, v22, v36
	s_wait_dscnt 0x2
	v_mul_f32_e32 v12, v65, v12
	v_dual_mov_b32 v46, v66 :: v_dual_mov_b32 v61, v75
	v_dual_mov_b32 v63, v26 :: v_dual_mov_b32 v48, v67
	s_delay_alu instid0(VALU_DEP_3)
	v_dual_fmac_f32 v12, v20, v11 :: v_dual_mov_b32 v73, v78
	s_wait_dscnt 0x1
	v_mul_f32_e32 v34, v77, v36
	v_fma_f32 v29, v77, v35, -v30
	s_wait_dscnt 0x0
	v_mul_f32_e32 v66, v79, v32
	s_delay_alu instid0(VALU_DEP_3) | instskip(SKIP_2) | instid1(VALU_DEP_3)
	v_dual_fmac_f32 v34, v22, v35 :: v_dual_mul_f32 v35, v19, v10
	v_lshlrev_b64_e32 v[43:44], 3, v[43:44]
	v_mov_b32_e32 v50, v68
	v_dual_sub_f32 v30, v39, v29 :: v_dual_sub_f32 v29, v17, v34
	s_delay_alu instid0(VALU_DEP_4)
	v_fma_f32 v20, v64, v9, -v35
	v_mul_f32_e32 v36, v21, v38
	v_mul_f32_e32 v38, v76, v38
	v_add_co_u32 v43, vcc_lo, v83, v43
	s_wait_alu 0xfffd
	v_add_co_ci_u32_e32 v44, vcc_lo, v84, v44, vcc_lo
	s_delay_alu instid0(VALU_DEP_3) | instskip(SKIP_4) | instid1(VALU_DEP_4)
	v_fmac_f32_e32 v38, v21, v37
	v_dual_mov_b32 v52, v69 :: v_dual_sub_f32 v21, v18, v27
	v_lshlrev_b64_e32 v[47:48], 3, v[47:48]
	v_lshlrev_b64_e32 v[49:50], 3, v[49:50]
	v_fmac_f32_e32 v66, v15, v31
	v_lshlrev_b64_e32 v[25:26], 3, v[51:52]
	v_lshlrev_b64_e32 v[51:52], 3, v[54:55]
	v_lshlrev_b64_e32 v[53:54], 3, v[56:57]
	v_lshlrev_b64_e32 v[55:56], 3, v[58:59]
	v_lshlrev_b64_e32 v[57:58], 3, v[60:61]
	v_lshlrev_b64_e32 v[59:60], 3, v[62:63]
	v_mul_f32_e32 v63, v15, v32
	v_fma_f32 v32, v76, v37, -v36
	v_mul_f32_e32 v37, v80, v8
	v_lshlrev_b64_e32 v[45:46], 3, v[45:46]
	v_mul_f32_e32 v36, v64, v10
	v_mul_f32_e32 v10, v16, v8
	v_fma_f32 v8, v79, v31, -v63
	v_sub_f32_e32 v31, v14, v38
	v_fma_f32 v27, v65, v11, -v33
	v_add_co_u32 v45, vcc_lo, v83, v45
	s_wait_alu 0xfffd
	v_add_co_ci_u32_e32 v46, vcc_lo, v84, v46, vcc_lo
	v_add_co_u32 v47, vcc_lo, v83, v47
	s_wait_alu 0xfffd
	v_add_co_ci_u32_e32 v48, vcc_lo, v84, v48, vcc_lo
	;; [unrolled: 3-line block ×5, first 2 shown]
	v_add_co_u32 v53, vcc_lo, v83, v53
	v_fma_f32 v33, v80, v7, -v10
	v_fmac_f32_e32 v37, v16, v7
	s_wait_alu 0xfffd
	v_add_co_ci_u32_e32 v54, vcc_lo, v84, v54, vcc_lo
	v_add_co_u32 v55, vcc_lo, v83, v55
	v_fmac_f32_e32 v36, v19, v9
	v_dual_sub_f32 v22, v40, v6 :: v_dual_sub_f32 v7, v41, v8
	v_sub_f32_e32 v6, v13, v66
	s_wait_alu 0xfffd
	v_add_co_ci_u32_e32 v56, vcc_lo, v84, v56, vcc_lo
	v_lshlrev_b64_e32 v[61:62], 3, v[72:73]
	v_add_co_u32 v57, vcc_lo, v83, v57
	v_sub_f32_e32 v34, v86, v33
	v_sub_f32_e32 v33, v28, v37
	s_wait_alu 0xfffd
	v_add_co_ci_u32_e32 v58, vcc_lo, v84, v58, vcc_lo
	v_fma_f32 v8, v18, 2.0, -v21
	v_sub_f32_e32 v16, v24, v12
	v_sub_f32_e32 v19, v82, v20
	;; [unrolled: 1-line block ×3, first 2 shown]
	v_add_co_u32 v59, vcc_lo, v83, v59
	v_sub_f32_e32 v32, v42, v32
	v_fma_f32 v10, v17, 2.0, -v29
	v_sub_f32_e32 v17, v85, v27
	v_fma_f32 v36, v41, 2.0, -v7
	v_fma_f32 v35, v13, 2.0, -v6
	s_wait_alu 0xfffd
	v_add_co_ci_u32_e32 v60, vcc_lo, v84, v60, vcc_lo
	v_fma_f32 v38, v86, 2.0, -v34
	v_fma_f32 v37, v28, 2.0, -v33
	v_add_co_u32 v61, vcc_lo, v83, v61
	v_fma_f32 v12, v24, 2.0, -v16
	v_fma_f32 v24, v82, 2.0, -v19
	v_fma_f32 v23, v23, 2.0, -v18
	s_wait_alu 0xfffd
	v_add_co_ci_u32_e32 v62, vcc_lo, v84, v62, vcc_lo
	v_fma_f32 v9, v40, 2.0, -v22
	v_fma_f32 v11, v39, 2.0, -v30
	;; [unrolled: 1-line block ×5, first 2 shown]
	s_clause 0xd
	global_store_b64 v[2:3], v[35:36], off
	global_store_b64 v[0:1], v[6:7], off
	;; [unrolled: 1-line block ×14, first 2 shown]
.LBB0_29:
	s_nop 0
	s_sendmsg sendmsg(MSG_DEALLOC_VGPRS)
	s_endpgm
	.section	.rodata,"a",@progbits
	.p2align	6, 0x0
	.amdhsa_kernel fft_rtc_back_len714_factors_3_17_7_2_wgs_51_tpt_51_halfLds_sp_op_CI_CI_sbrr_dirReg
		.amdhsa_group_segment_fixed_size 0
		.amdhsa_private_segment_fixed_size 0
		.amdhsa_kernarg_size 104
		.amdhsa_user_sgpr_count 2
		.amdhsa_user_sgpr_dispatch_ptr 0
		.amdhsa_user_sgpr_queue_ptr 0
		.amdhsa_user_sgpr_kernarg_segment_ptr 1
		.amdhsa_user_sgpr_dispatch_id 0
		.amdhsa_user_sgpr_private_segment_size 0
		.amdhsa_wavefront_size32 1
		.amdhsa_uses_dynamic_stack 0
		.amdhsa_enable_private_segment 0
		.amdhsa_system_sgpr_workgroup_id_x 1
		.amdhsa_system_sgpr_workgroup_id_y 0
		.amdhsa_system_sgpr_workgroup_id_z 0
		.amdhsa_system_sgpr_workgroup_info 0
		.amdhsa_system_vgpr_workitem_id 0
		.amdhsa_next_free_vgpr 93
		.amdhsa_next_free_sgpr 43
		.amdhsa_reserve_vcc 1
		.amdhsa_float_round_mode_32 0
		.amdhsa_float_round_mode_16_64 0
		.amdhsa_float_denorm_mode_32 3
		.amdhsa_float_denorm_mode_16_64 3
		.amdhsa_fp16_overflow 0
		.amdhsa_workgroup_processor_mode 1
		.amdhsa_memory_ordered 1
		.amdhsa_forward_progress 0
		.amdhsa_round_robin_scheduling 0
		.amdhsa_exception_fp_ieee_invalid_op 0
		.amdhsa_exception_fp_denorm_src 0
		.amdhsa_exception_fp_ieee_div_zero 0
		.amdhsa_exception_fp_ieee_overflow 0
		.amdhsa_exception_fp_ieee_underflow 0
		.amdhsa_exception_fp_ieee_inexact 0
		.amdhsa_exception_int_div_zero 0
	.end_amdhsa_kernel
	.text
.Lfunc_end0:
	.size	fft_rtc_back_len714_factors_3_17_7_2_wgs_51_tpt_51_halfLds_sp_op_CI_CI_sbrr_dirReg, .Lfunc_end0-fft_rtc_back_len714_factors_3_17_7_2_wgs_51_tpt_51_halfLds_sp_op_CI_CI_sbrr_dirReg
                                        ; -- End function
	.section	.AMDGPU.csdata,"",@progbits
; Kernel info:
; codeLenInByte = 13380
; NumSgprs: 45
; NumVgprs: 93
; ScratchSize: 0
; MemoryBound: 0
; FloatMode: 240
; IeeeMode: 1
; LDSByteSize: 0 bytes/workgroup (compile time only)
; SGPRBlocks: 5
; VGPRBlocks: 11
; NumSGPRsForWavesPerEU: 45
; NumVGPRsForWavesPerEU: 93
; Occupancy: 16
; WaveLimiterHint : 1
; COMPUTE_PGM_RSRC2:SCRATCH_EN: 0
; COMPUTE_PGM_RSRC2:USER_SGPR: 2
; COMPUTE_PGM_RSRC2:TRAP_HANDLER: 0
; COMPUTE_PGM_RSRC2:TGID_X_EN: 1
; COMPUTE_PGM_RSRC2:TGID_Y_EN: 0
; COMPUTE_PGM_RSRC2:TGID_Z_EN: 0
; COMPUTE_PGM_RSRC2:TIDIG_COMP_CNT: 0
	.text
	.p2alignl 7, 3214868480
	.fill 96, 4, 3214868480
	.type	__hip_cuid_a7152f1a0b7d6302,@object ; @__hip_cuid_a7152f1a0b7d6302
	.section	.bss,"aw",@nobits
	.globl	__hip_cuid_a7152f1a0b7d6302
__hip_cuid_a7152f1a0b7d6302:
	.byte	0                               ; 0x0
	.size	__hip_cuid_a7152f1a0b7d6302, 1

	.ident	"AMD clang version 19.0.0git (https://github.com/RadeonOpenCompute/llvm-project roc-6.4.0 25133 c7fe45cf4b819c5991fe208aaa96edf142730f1d)"
	.section	".note.GNU-stack","",@progbits
	.addrsig
	.addrsig_sym __hip_cuid_a7152f1a0b7d6302
	.amdgpu_metadata
---
amdhsa.kernels:
  - .args:
      - .actual_access:  read_only
        .address_space:  global
        .offset:         0
        .size:           8
        .value_kind:     global_buffer
      - .offset:         8
        .size:           8
        .value_kind:     by_value
      - .actual_access:  read_only
        .address_space:  global
        .offset:         16
        .size:           8
        .value_kind:     global_buffer
      - .actual_access:  read_only
        .address_space:  global
        .offset:         24
        .size:           8
        .value_kind:     global_buffer
      - .actual_access:  read_only
        .address_space:  global
        .offset:         32
        .size:           8
        .value_kind:     global_buffer
      - .offset:         40
        .size:           8
        .value_kind:     by_value
      - .actual_access:  read_only
        .address_space:  global
        .offset:         48
        .size:           8
        .value_kind:     global_buffer
      - .actual_access:  read_only
        .address_space:  global
        .offset:         56
        .size:           8
        .value_kind:     global_buffer
      - .offset:         64
        .size:           4
        .value_kind:     by_value
      - .actual_access:  read_only
        .address_space:  global
        .offset:         72
        .size:           8
        .value_kind:     global_buffer
      - .actual_access:  read_only
        .address_space:  global
        .offset:         80
        .size:           8
        .value_kind:     global_buffer
      - .actual_access:  read_only
        .address_space:  global
        .offset:         88
        .size:           8
        .value_kind:     global_buffer
      - .actual_access:  write_only
        .address_space:  global
        .offset:         96
        .size:           8
        .value_kind:     global_buffer
    .group_segment_fixed_size: 0
    .kernarg_segment_align: 8
    .kernarg_segment_size: 104
    .language:       OpenCL C
    .language_version:
      - 2
      - 0
    .max_flat_workgroup_size: 51
    .name:           fft_rtc_back_len714_factors_3_17_7_2_wgs_51_tpt_51_halfLds_sp_op_CI_CI_sbrr_dirReg
    .private_segment_fixed_size: 0
    .sgpr_count:     45
    .sgpr_spill_count: 0
    .symbol:         fft_rtc_back_len714_factors_3_17_7_2_wgs_51_tpt_51_halfLds_sp_op_CI_CI_sbrr_dirReg.kd
    .uniform_work_group_size: 1
    .uses_dynamic_stack: false
    .vgpr_count:     93
    .vgpr_spill_count: 0
    .wavefront_size: 32
    .workgroup_processor_mode: 1
amdhsa.target:   amdgcn-amd-amdhsa--gfx1201
amdhsa.version:
  - 1
  - 2
...

	.end_amdgpu_metadata
